;; amdgpu-corpus repo=ROCm/rocFFT kind=compiled arch=gfx906 opt=O3
	.text
	.amdgcn_target "amdgcn-amd-amdhsa--gfx906"
	.amdhsa_code_object_version 6
	.protected	fft_rtc_fwd_len816_factors_17_2_3_2_2_2_wgs_51_tpt_51_halfLds_half_ip_CI_unitstride_sbrr_R2C_dirReg ; -- Begin function fft_rtc_fwd_len816_factors_17_2_3_2_2_2_wgs_51_tpt_51_halfLds_half_ip_CI_unitstride_sbrr_R2C_dirReg
	.globl	fft_rtc_fwd_len816_factors_17_2_3_2_2_2_wgs_51_tpt_51_halfLds_half_ip_CI_unitstride_sbrr_R2C_dirReg
	.p2align	8
	.type	fft_rtc_fwd_len816_factors_17_2_3_2_2_2_wgs_51_tpt_51_halfLds_half_ip_CI_unitstride_sbrr_R2C_dirReg,@function
fft_rtc_fwd_len816_factors_17_2_3_2_2_2_wgs_51_tpt_51_halfLds_half_ip_CI_unitstride_sbrr_R2C_dirReg: ; @fft_rtc_fwd_len816_factors_17_2_3_2_2_2_wgs_51_tpt_51_halfLds_half_ip_CI_unitstride_sbrr_R2C_dirReg
; %bb.0:
	s_load_dwordx2 s[12:13], s[4:5], 0x50
	s_load_dwordx4 s[8:11], s[4:5], 0x0
	s_load_dwordx2 s[2:3], s[4:5], 0x18
	v_mul_u32_u24_e32 v1, 0x506, v0
	v_add_u32_sdwa v5, s6, v1 dst_sel:DWORD dst_unused:UNUSED_PAD src0_sel:DWORD src1_sel:WORD_1
	v_mov_b32_e32 v3, 0
	s_waitcnt lgkmcnt(0)
	v_cmp_lt_u64_e64 s[0:1], s[10:11], 2
	v_mov_b32_e32 v1, 0
	v_mov_b32_e32 v6, v3
	s_and_b64 vcc, exec, s[0:1]
	v_mov_b32_e32 v2, 0
	s_cbranch_vccnz .LBB0_8
; %bb.1:
	s_load_dwordx2 s[0:1], s[4:5], 0x10
	s_add_u32 s6, s2, 8
	s_addc_u32 s7, s3, 0
	v_mov_b32_e32 v1, 0
	v_mov_b32_e32 v2, 0
	s_waitcnt lgkmcnt(0)
	s_add_u32 s14, s0, 8
	s_addc_u32 s15, s1, 0
	s_mov_b64 s[16:17], 1
.LBB0_2:                                ; =>This Inner Loop Header: Depth=1
	s_load_dwordx2 s[18:19], s[14:15], 0x0
                                        ; implicit-def: $vgpr7_vgpr8
	s_waitcnt lgkmcnt(0)
	v_or_b32_e32 v4, s19, v6
	v_cmp_ne_u64_e32 vcc, 0, v[3:4]
	s_and_saveexec_b64 s[0:1], vcc
	s_xor_b64 s[20:21], exec, s[0:1]
	s_cbranch_execz .LBB0_4
; %bb.3:                                ;   in Loop: Header=BB0_2 Depth=1
	v_cvt_f32_u32_e32 v4, s18
	v_cvt_f32_u32_e32 v7, s19
	s_sub_u32 s0, 0, s18
	s_subb_u32 s1, 0, s19
	v_mac_f32_e32 v4, 0x4f800000, v7
	v_rcp_f32_e32 v4, v4
	v_mul_f32_e32 v4, 0x5f7ffffc, v4
	v_mul_f32_e32 v7, 0x2f800000, v4
	v_trunc_f32_e32 v7, v7
	v_mac_f32_e32 v4, 0xcf800000, v7
	v_cvt_u32_f32_e32 v7, v7
	v_cvt_u32_f32_e32 v4, v4
	v_mul_lo_u32 v8, s0, v7
	v_mul_hi_u32 v9, s0, v4
	v_mul_lo_u32 v11, s1, v4
	v_mul_lo_u32 v10, s0, v4
	v_add_u32_e32 v8, v9, v8
	v_add_u32_e32 v8, v8, v11
	v_mul_hi_u32 v9, v4, v10
	v_mul_lo_u32 v11, v4, v8
	v_mul_hi_u32 v13, v4, v8
	v_mul_hi_u32 v12, v7, v10
	v_mul_lo_u32 v10, v7, v10
	v_mul_hi_u32 v14, v7, v8
	v_add_co_u32_e32 v9, vcc, v9, v11
	v_addc_co_u32_e32 v11, vcc, 0, v13, vcc
	v_mul_lo_u32 v8, v7, v8
	v_add_co_u32_e32 v9, vcc, v9, v10
	v_addc_co_u32_e32 v9, vcc, v11, v12, vcc
	v_addc_co_u32_e32 v10, vcc, 0, v14, vcc
	v_add_co_u32_e32 v8, vcc, v9, v8
	v_addc_co_u32_e32 v9, vcc, 0, v10, vcc
	v_add_co_u32_e32 v4, vcc, v4, v8
	v_addc_co_u32_e32 v7, vcc, v7, v9, vcc
	v_mul_lo_u32 v8, s0, v7
	v_mul_hi_u32 v9, s0, v4
	v_mul_lo_u32 v10, s1, v4
	v_mul_lo_u32 v11, s0, v4
	v_add_u32_e32 v8, v9, v8
	v_add_u32_e32 v8, v8, v10
	v_mul_lo_u32 v12, v4, v8
	v_mul_hi_u32 v13, v4, v11
	v_mul_hi_u32 v14, v4, v8
	;; [unrolled: 1-line block ×3, first 2 shown]
	v_mul_lo_u32 v11, v7, v11
	v_mul_hi_u32 v9, v7, v8
	v_add_co_u32_e32 v12, vcc, v13, v12
	v_addc_co_u32_e32 v13, vcc, 0, v14, vcc
	v_mul_lo_u32 v8, v7, v8
	v_add_co_u32_e32 v11, vcc, v12, v11
	v_addc_co_u32_e32 v10, vcc, v13, v10, vcc
	v_addc_co_u32_e32 v9, vcc, 0, v9, vcc
	v_add_co_u32_e32 v8, vcc, v10, v8
	v_addc_co_u32_e32 v9, vcc, 0, v9, vcc
	v_add_co_u32_e32 v4, vcc, v4, v8
	v_addc_co_u32_e32 v9, vcc, v7, v9, vcc
	v_mad_u64_u32 v[7:8], s[0:1], v5, v9, 0
	v_mul_hi_u32 v10, v5, v4
	v_add_co_u32_e32 v11, vcc, v10, v7
	v_addc_co_u32_e32 v12, vcc, 0, v8, vcc
	v_mad_u64_u32 v[7:8], s[0:1], v6, v4, 0
	v_mad_u64_u32 v[9:10], s[0:1], v6, v9, 0
	v_add_co_u32_e32 v4, vcc, v11, v7
	v_addc_co_u32_e32 v4, vcc, v12, v8, vcc
	v_addc_co_u32_e32 v7, vcc, 0, v10, vcc
	v_add_co_u32_e32 v4, vcc, v4, v9
	v_addc_co_u32_e32 v9, vcc, 0, v7, vcc
	v_mul_lo_u32 v10, s19, v4
	v_mul_lo_u32 v11, s18, v9
	v_mad_u64_u32 v[7:8], s[0:1], s18, v4, 0
	v_add3_u32 v8, v8, v11, v10
	v_sub_u32_e32 v10, v6, v8
	v_mov_b32_e32 v11, s19
	v_sub_co_u32_e32 v7, vcc, v5, v7
	v_subb_co_u32_e64 v10, s[0:1], v10, v11, vcc
	v_subrev_co_u32_e64 v11, s[0:1], s18, v7
	v_subbrev_co_u32_e64 v10, s[0:1], 0, v10, s[0:1]
	v_cmp_le_u32_e64 s[0:1], s19, v10
	v_cndmask_b32_e64 v12, 0, -1, s[0:1]
	v_cmp_le_u32_e64 s[0:1], s18, v11
	v_cndmask_b32_e64 v11, 0, -1, s[0:1]
	v_cmp_eq_u32_e64 s[0:1], s19, v10
	v_cndmask_b32_e64 v10, v12, v11, s[0:1]
	v_add_co_u32_e64 v11, s[0:1], 2, v4
	v_addc_co_u32_e64 v12, s[0:1], 0, v9, s[0:1]
	v_add_co_u32_e64 v13, s[0:1], 1, v4
	v_addc_co_u32_e64 v14, s[0:1], 0, v9, s[0:1]
	v_subb_co_u32_e32 v8, vcc, v6, v8, vcc
	v_cmp_ne_u32_e64 s[0:1], 0, v10
	v_cmp_le_u32_e32 vcc, s19, v8
	v_cndmask_b32_e64 v10, v14, v12, s[0:1]
	v_cndmask_b32_e64 v12, 0, -1, vcc
	v_cmp_le_u32_e32 vcc, s18, v7
	v_cndmask_b32_e64 v7, 0, -1, vcc
	v_cmp_eq_u32_e32 vcc, s19, v8
	v_cndmask_b32_e32 v7, v12, v7, vcc
	v_cmp_ne_u32_e32 vcc, 0, v7
	v_cndmask_b32_e64 v7, v13, v11, s[0:1]
	v_cndmask_b32_e32 v8, v9, v10, vcc
	v_cndmask_b32_e32 v7, v4, v7, vcc
.LBB0_4:                                ;   in Loop: Header=BB0_2 Depth=1
	s_andn2_saveexec_b64 s[0:1], s[20:21]
	s_cbranch_execz .LBB0_6
; %bb.5:                                ;   in Loop: Header=BB0_2 Depth=1
	v_cvt_f32_u32_e32 v4, s18
	s_sub_i32 s20, 0, s18
	v_rcp_iflag_f32_e32 v4, v4
	v_mul_f32_e32 v4, 0x4f7ffffe, v4
	v_cvt_u32_f32_e32 v4, v4
	v_mul_lo_u32 v7, s20, v4
	v_mul_hi_u32 v7, v4, v7
	v_add_u32_e32 v4, v4, v7
	v_mul_hi_u32 v4, v5, v4
	v_mul_lo_u32 v7, v4, s18
	v_add_u32_e32 v8, 1, v4
	v_sub_u32_e32 v7, v5, v7
	v_subrev_u32_e32 v9, s18, v7
	v_cmp_le_u32_e32 vcc, s18, v7
	v_cndmask_b32_e32 v7, v7, v9, vcc
	v_cndmask_b32_e32 v4, v4, v8, vcc
	v_add_u32_e32 v8, 1, v4
	v_cmp_le_u32_e32 vcc, s18, v7
	v_cndmask_b32_e32 v7, v4, v8, vcc
	v_mov_b32_e32 v8, v3
.LBB0_6:                                ;   in Loop: Header=BB0_2 Depth=1
	s_or_b64 exec, exec, s[0:1]
	v_mul_lo_u32 v4, v8, s18
	v_mul_lo_u32 v11, v7, s19
	v_mad_u64_u32 v[9:10], s[0:1], v7, s18, 0
	s_load_dwordx2 s[0:1], s[6:7], 0x0
	s_add_u32 s16, s16, 1
	v_add3_u32 v4, v10, v11, v4
	v_sub_co_u32_e32 v5, vcc, v5, v9
	v_subb_co_u32_e32 v4, vcc, v6, v4, vcc
	s_waitcnt lgkmcnt(0)
	v_mul_lo_u32 v4, s0, v4
	v_mul_lo_u32 v6, s1, v5
	v_mad_u64_u32 v[1:2], s[0:1], s0, v5, v[1:2]
	s_addc_u32 s17, s17, 0
	s_add_u32 s6, s6, 8
	v_add3_u32 v2, v6, v2, v4
	v_mov_b32_e32 v4, s10
	v_mov_b32_e32 v5, s11
	s_addc_u32 s7, s7, 0
	v_cmp_ge_u64_e32 vcc, s[16:17], v[4:5]
	s_add_u32 s14, s14, 8
	s_addc_u32 s15, s15, 0
	s_cbranch_vccnz .LBB0_9
; %bb.7:                                ;   in Loop: Header=BB0_2 Depth=1
	v_mov_b32_e32 v5, v7
	v_mov_b32_e32 v6, v8
	s_branch .LBB0_2
.LBB0_8:
	v_mov_b32_e32 v8, v6
	v_mov_b32_e32 v7, v5
.LBB0_9:
	s_lshl_b64 s[0:1], s[10:11], 3
	s_add_u32 s0, s2, s0
	s_addc_u32 s1, s3, s1
	s_load_dwordx2 s[2:3], s[0:1], 0x0
	s_load_dwordx2 s[6:7], s[4:5], 0x20
	s_waitcnt lgkmcnt(0)
	v_mad_u64_u32 v[1:2], s[0:1], s2, v7, v[1:2]
	s_mov_b32 s0, 0x5050506
	v_mul_lo_u32 v3, s2, v8
	v_mul_lo_u32 v4, s3, v7
	v_mul_hi_u32 v5, v0, s0
	v_cmp_gt_u64_e32 vcc, s[6:7], v[7:8]
	v_add3_u32 v2, v4, v2, v3
	v_mul_u32_u24_e32 v3, 51, v5
	v_sub_u32_e32 v0, v0, v3
	v_lshlrev_b64 v[2:3], 2, v[1:2]
	v_lshl_add_u32 v20, v0, 2, 0
	s_and_saveexec_b64 s[2:3], vcc
	s_cbranch_execz .LBB0_11
; %bb.10:
	v_mov_b32_e32 v1, 0
	v_mov_b32_e32 v4, s13
	v_add_co_u32_e64 v6, s[0:1], s12, v2
	v_addc_co_u32_e64 v7, s[0:1], v4, v3, s[0:1]
	v_lshlrev_b64 v[4:5], 2, v[0:1]
	v_add_u32_e32 v21, 0x600, v20
	v_add_co_u32_e64 v4, s[0:1], v6, v4
	v_addc_co_u32_e64 v5, s[0:1], v7, v5, s[0:1]
	global_load_dword v1, v[4:5], off
	global_load_dword v6, v[4:5], off offset:204
	global_load_dword v7, v[4:5], off offset:408
	;; [unrolled: 1-line block ×14, first 2 shown]
	s_nop 0
	global_load_dword v4, v[4:5], off offset:3060
	v_add_u32_e32 v5, 0x400, v20
	v_add_u32_e32 v22, 0x800, v20
	s_waitcnt vmcnt(14)
	ds_write2_b32 v20, v1, v6 offset1:51
	s_waitcnt vmcnt(12)
	ds_write2_b32 v20, v7, v8 offset0:102 offset1:153
	s_waitcnt vmcnt(10)
	ds_write2_b32 v20, v9, v10 offset0:204 offset1:255
	;; [unrolled: 2-line block ×7, first 2 shown]
.LBB0_11:
	s_or_b64 exec, exec, s[2:3]
	s_waitcnt lgkmcnt(0)
	; wave barrier
	s_waitcnt lgkmcnt(0)
	ds_read2_b32 v[4:5], v20 offset1:48
	ds_read_b32 v31, v20 offset:3072
	v_add_u32_e32 v22, 0x800, v20
	ds_read2_b32 v[6:7], v22 offset0:160 offset1:208
	ds_read2_b32 v[16:17], v20 offset0:96 offset1:144
	s_mov_b32 s20, 0xb5c8
	s_movk_i32 s4, 0x3b76
	s_waitcnt lgkmcnt(2)
	v_pk_add_f16 v25, v5, v31 neg_lo:[0,1] neg_hi:[0,1]
	v_pk_add_f16 v27, v31, v5
	v_mul_f16_sdwa v41, v25, s20 dst_sel:DWORD dst_unused:UNUSED_PAD src0_sel:WORD_1 src1_sel:DWORD
	s_waitcnt lgkmcnt(0)
	v_pk_add_f16 v26, v16, v7 neg_lo:[0,1] neg_hi:[0,1]
	s_mov_b32 s24, 0xb964
	v_fma_f16 v1, v27, s4, v41
	v_pk_add_f16 v29, v7, v16
	s_movk_i32 s5, 0x39e9
	v_mul_f16_sdwa v43, v26, s24 dst_sel:DWORD dst_unused:UNUSED_PAD src0_sel:WORD_1 src1_sel:DWORD
	v_lshrrev_b32_e32 v47, 16, v27
	v_add_f16_e32 v1, v4, v1
	v_fma_f16 v8, v29, s5, v43
	v_mul_f16_e32 v48, 0xb5c8, v25
	v_add_f16_e32 v1, v8, v1
	v_fma_f16 v8, v47, s4, -v48
	v_lshrrev_b32_e32 v51, 16, v29
	v_mul_f16_e32 v50, 0xb964, v26
	s_mov_b32 s21, 0xbb29
	v_pk_add_f16 v28, v17, v6 neg_lo:[0,1] neg_hi:[0,1]
	v_add_f16_sdwa v8, v4, v8 dst_sel:DWORD dst_unused:UNUSED_PAD src0_sel:WORD_1 src1_sel:DWORD
	v_fma_f16 v9, v51, s5, -v50
	s_movk_i32 s6, 0x3722
	v_pk_add_f16 v32, v6, v17
	v_mul_f16_sdwa v44, v28, s21 dst_sel:DWORD dst_unused:UNUSED_PAD src0_sel:WORD_1 src1_sel:DWORD
	v_add_f16_e32 v10, v9, v8
	v_fma_f16 v8, v32, s6, v44
	v_add_f16_e32 v1, v8, v1
	ds_read2_b32 v[8:9], v22 offset0:64 offset1:112
	ds_read2_b32 v[18:19], v20 offset0:192 offset1:240
	v_lshrrev_b32_e32 v56, 16, v32
	v_mul_f16_e32 v54, 0xbb29, v28
	s_mov_b32 s23, 0xbbf7
	v_fma_f16 v11, v56, s6, -v54
	s_waitcnt lgkmcnt(0)
	v_pk_add_f16 v30, v18, v9 neg_lo:[0,1] neg_hi:[0,1]
	s_movk_i32 s7, 0x2de8
	v_pk_add_f16 v34, v9, v18
	v_mul_f16_sdwa v45, v30, s23 dst_sel:DWORD dst_unused:UNUSED_PAD src0_sel:WORD_1 src1_sel:DWORD
	v_add_f16_e32 v10, v11, v10
	v_fma_f16 v11, v34, s7, v45
	v_lshrrev_b32_e32 v58, 16, v34
	v_mul_f16_e32 v57, 0xbbf7, v30
	s_mov_b32 s10, 0xbbb2
	v_pk_add_f16 v33, v19, v8 neg_lo:[0,1] neg_hi:[0,1]
	v_add_f16_e32 v1, v11, v1
	v_fma_f16 v11, v58, s7, -v57
	s_mov_b32 s11, 0xb461
	v_pk_add_f16 v35, v8, v19
	v_mul_f16_sdwa v46, v33, s10 dst_sel:DWORD dst_unused:UNUSED_PAD src0_sel:WORD_1 src1_sel:DWORD
	v_add_f16_e32 v14, v11, v10
	v_fma_f16 v10, v35, s11, v46
	v_add_u32_e32 v23, 0x400, v20
	v_add_f16_e32 v1, v10, v1
	v_add_u32_e32 v24, 0x600, v20
	ds_read2_b32 v[12:13], v23 offset0:32 offset1:80
	ds_read2_b32 v[10:11], v24 offset0:96 offset1:144
	v_lshrrev_b32_e32 v60, 16, v35
	v_mul_f16_e32 v59, 0xbbb2, v33
	s_mov_b32 s14, 0xba62
	v_fma_f16 v15, v60, s11, -v59
	s_waitcnt lgkmcnt(0)
	v_pk_add_f16 v36, v12, v11 neg_lo:[0,1] neg_hi:[0,1]
	s_mov_b32 s15, 0xb8d2
	v_pk_add_f16 v38, v11, v12
	v_mul_f16_sdwa v49, v36, s14 dst_sel:DWORD dst_unused:UNUSED_PAD src0_sel:WORD_1 src1_sel:DWORD
	v_add_f16_e32 v14, v15, v14
	v_fma_f16 v15, v38, s15, v49
	v_lshrrev_b32_e32 v62, 16, v38
	v_mul_f16_e32 v61, 0xba62, v36
	s_mov_b32 s16, 0xb836
	v_pk_add_f16 v37, v13, v10 neg_lo:[0,1] neg_hi:[0,1]
	v_add_f16_e32 v1, v15, v1
	v_fma_f16 v15, v62, s15, -v61
	s_mov_b32 s17, 0xbacd
	v_pk_add_f16 v39, v10, v13
	v_mul_f16_sdwa v55, v37, s16 dst_sel:DWORD dst_unused:UNUSED_PAD src0_sel:WORD_1 src1_sel:DWORD
	v_add_f16_e32 v21, v15, v14
	v_fma_f16 v14, v39, s17, v55
	v_add_f16_e32 v1, v14, v1
	ds_read2_b32 v[14:15], v23 offset0:128 offset1:176
	v_lshrrev_b32_e32 v64, 16, v39
	v_mul_f16_e32 v63, 0xb836, v37
	v_fma_f16 v40, v64, s17, -v63
	v_add_f16_e32 v21, v40, v21
	s_mov_b32 s18, 0xb1e1
	s_waitcnt lgkmcnt(0)
	v_pk_add_f16 v40, v14, v15 neg_lo:[0,1] neg_hi:[0,1]
	s_mov_b32 s19, 0xbbdd
	v_pk_add_f16 v42, v15, v14
	v_mul_f16_sdwa v52, v40, s18 dst_sel:DWORD dst_unused:UNUSED_PAD src0_sel:WORD_1 src1_sel:DWORD
	v_fma_f16 v53, v42, s19, v52
	v_lshrrev_b32_e32 v66, 16, v42
	v_mul_f16_e32 v65, 0xb1e1, v40
	v_add_f16_e32 v1, v53, v1
	v_fma_f16 v53, v66, s19, -v65
	v_add_f16_e32 v21, v53, v21
	v_cmp_gt_u32_e64 s[0:1], 48, v0
	s_waitcnt lgkmcnt(0)
	; wave barrier
	s_and_saveexec_b64 s[2:3], s[0:1]
	s_cbranch_execz .LBB0_13
; %bb.12:
	v_mul_f16_sdwa v67, v25, s24 dst_sel:DWORD dst_unused:UNUSED_PAD src0_sel:WORD_1 src1_sel:DWORD
	v_fma_f16 v53, v27, s5, v67
	v_mul_f16_sdwa v68, v26, s23 dst_sel:DWORD dst_unused:UNUSED_PAD src0_sel:WORD_1 src1_sel:DWORD
	v_add_f16_e32 v53, v4, v53
	v_fma_f16 v69, v29, s7, v68
	v_add_f16_e32 v53, v69, v53
	v_mul_f16_sdwa v69, v28, s14 dst_sel:DWORD dst_unused:UNUSED_PAD src0_sel:WORD_1 src1_sel:DWORD
	v_fma_f16 v70, v32, s15, v69
	v_add_f16_e32 v53, v70, v53
	v_mul_f16_sdwa v70, v30, s18 dst_sel:DWORD dst_unused:UNUSED_PAD src0_sel:WORD_1 src1_sel:DWORD
	v_fma_f16 v71, v34, s19, v70
	s_movk_i32 s27, 0x3836
	v_add_f16_e32 v53, v71, v53
	v_mul_f16_sdwa v71, v33, s27 dst_sel:DWORD dst_unused:UNUSED_PAD src0_sel:WORD_1 src1_sel:DWORD
	v_fma_f16 v72, v35, s17, v71
	s_movk_i32 s25, 0x3bb2
	;; [unrolled: 4-line block ×4, first 2 shown]
	v_add_f16_e32 v53, v74, v53
	v_mul_f16_sdwa v74, v40, s1 dst_sel:DWORD dst_unused:UNUSED_PAD src0_sel:WORD_1 src1_sel:DWORD
	v_fma_f16 v75, v42, s4, v74
	v_add_f16_e32 v53, v75, v53
	v_mul_f16_e32 v75, 0x3722, v47
	v_fma_f16 v76, v25, s0, v75
	v_add_f16_sdwa v77, v4, v76 dst_sel:DWORD dst_unused:UNUSED_PAD src0_sel:WORD_1 src1_sel:DWORD
	v_mul_f16_e32 v76, 0xb8d2, v51
	s_movk_i32 s26, 0x3a62
	v_fma_f16 v78, v26, s26, v76
	v_add_f16_e32 v78, v78, v77
	v_mul_f16_e32 v77, 0xbbdd, v56
	v_fma_f16 v79, v28, s18, v77
	v_add_f16_e32 v79, v79, v78
	v_mul_f16_e32 v78, 0xb461, v58
	;; [unrolled: 3-line block ×4, first 2 shown]
	v_fma_f16 v82, v36, s1, v80
	v_pk_add_f16 v5, v4, v5
	v_add_f16_e32 v82, v82, v81
	v_mul_f16_e32 v81, 0x2de8, v64
	s_movk_i32 s22, 0x3bf7
	v_pk_add_f16 v5, v5, v16
	v_fma_f16 v83, v37, s22, v81
	v_pk_add_f16 v16, v5, v17
	v_mul_f16_e32 v17, 0xbacd, v66
	v_add_f16_e32 v82, v83, v82
	v_fma_f16 v5, v40, s27, v17
	v_add_f16_e32 v5, v5, v82
	v_mul_f16_e32 v82, 0x2de8, v47
	v_pk_add_f16 v16, v16, v18
	v_pk_add_f16 v18, v16, v19
	v_fma_f16 v16, v25, s22, v82
	v_mul_f16_e32 v19, 0xbbdd, v51
	s_movk_i32 s29, 0x31e1
	v_add_f16_sdwa v16, v4, v16 dst_sel:DWORD dst_unused:UNUSED_PAD src0_sel:WORD_1 src1_sel:DWORD
	v_fma_f16 v83, v26, s29, v19
	v_add_f16_e32 v16, v83, v16
	v_mul_f16_e32 v83, 0xb461, v56
	v_fma_f16 v84, v28, s10, v83
	v_add_f16_e32 v16, v84, v16
	v_mul_f16_e32 v84, 0x3b76, v58
	;; [unrolled: 3-line block ×4, first 2 shown]
	v_fma_f16 v87, v36, s27, v86
	v_add_f16_e32 v16, v87, v16
	v_mul_f16_sdwa v87, v25, s23 dst_sel:DWORD dst_unused:UNUSED_PAD src0_sel:WORD_1 src1_sel:DWORD
	v_fma_f16 v88, v27, s7, v87
	v_mul_f16_sdwa v89, v26, s18 dst_sel:DWORD dst_unused:UNUSED_PAD src0_sel:WORD_1 src1_sel:DWORD
	v_add_f16_e32 v88, v4, v88
	v_fma_f16 v90, v29, s19, v89
	v_add_f16_e32 v88, v90, v88
	v_mul_f16_sdwa v90, v28, s25 dst_sel:DWORD dst_unused:UNUSED_PAD src0_sel:WORD_1 src1_sel:DWORD
	v_fma_f16 v91, v32, s11, v90
	v_add_f16_e32 v88, v91, v88
	v_mul_f16_sdwa v91, v30, s1 dst_sel:DWORD dst_unused:UNUSED_PAD src0_sel:WORD_1 src1_sel:DWORD
	;; [unrolled: 3-line block ×5, first 2 shown]
	v_fma_f16 v95, v39, s15, v94
	s_movk_i32 s28, 0x3964
	v_add_f16_e32 v88, v95, v88
	v_mul_f16_sdwa v95, v40, s28 dst_sel:DWORD dst_unused:UNUSED_PAD src0_sel:WORD_1 src1_sel:DWORD
	v_fma_f16 v96, v42, s5, v95
	v_add_f16_e32 v88, v96, v88
	v_mul_f16_e32 v96, 0xb461, v47
	v_fma_f16 v97, v25, s25, v96
	v_mul_f16_e32 v98, 0xbacd, v51
	v_add_f16_sdwa v97, v4, v97 dst_sel:DWORD dst_unused:UNUSED_PAD src0_sel:WORD_1 src1_sel:DWORD
	v_fma_f16 v99, v26, s16, v98
	v_add_f16_e32 v97, v99, v97
	v_mul_f16_e32 v99, 0x39e9, v56
	v_fma_f16 v100, v28, s24, v99
	v_add_f16_e32 v97, v100, v97
	v_mul_f16_e32 v100, 0x3722, v58
	;; [unrolled: 3-line block ×6, first 2 shown]
	v_fma_f16 v105, v40, s26, v104
	v_add_f16_e32 v97, v105, v97
	v_mul_f16_sdwa v105, v25, s10 dst_sel:DWORD dst_unused:UNUSED_PAD src0_sel:WORD_1 src1_sel:DWORD
	v_fma_f16 v106, v27, s11, v105
	v_mul_f16_sdwa v107, v26, s27 dst_sel:DWORD dst_unused:UNUSED_PAD src0_sel:WORD_1 src1_sel:DWORD
	v_add_f16_e32 v106, v4, v106
	v_fma_f16 v108, v29, s17, v107
	v_add_f16_e32 v106, v108, v106
	v_mul_f16_sdwa v108, v28, s28 dst_sel:DWORD dst_unused:UNUSED_PAD src0_sel:WORD_1 src1_sel:DWORD
	v_fma_f16 v109, v32, s5, v108
	v_add_f16_e32 v106, v109, v106
	v_mul_f16_sdwa v109, v30, s21 dst_sel:DWORD dst_unused:UNUSED_PAD src0_sel:WORD_1 src1_sel:DWORD
	;; [unrolled: 3-line block ×6, first 2 shown]
	v_fma_f16 v114, v42, s15, v113
	v_add_f16_e32 v106, v114, v106
	v_mul_f16_e32 v114, 0xb8d2, v47
	v_fma_f16 v115, v25, s26, v114
	v_mul_f16_e32 v116, 0xb461, v51
	v_add_f16_sdwa v115, v4, v115 dst_sel:DWORD dst_unused:UNUSED_PAD src0_sel:WORD_1 src1_sel:DWORD
	v_fma_f16 v117, v26, s10, v116
	v_add_f16_e32 v115, v117, v115
	v_mul_f16_e32 v117, 0x3b76, v56
	v_fma_f16 v118, v28, s1, v117
	v_add_f16_e32 v115, v118, v115
	v_mul_f16_e32 v118, 0xbacd, v58
	;; [unrolled: 3-line block ×6, first 2 shown]
	v_fma_f16 v123, v40, s21, v122
	v_add_f16_e32 v115, v123, v115
	v_mul_f16_sdwa v123, v25, s14 dst_sel:DWORD dst_unused:UNUSED_PAD src0_sel:WORD_1 src1_sel:DWORD
	v_fma_f16 v124, v27, s15, v123
	v_mul_f16_sdwa v125, v26, s25 dst_sel:DWORD dst_unused:UNUSED_PAD src0_sel:WORD_1 src1_sel:DWORD
	v_add_f16_e32 v124, v4, v124
	v_fma_f16 v126, v29, s11, v125
	v_add_f16_e32 v124, v126, v124
	v_mul_f16_sdwa v126, v28, s20 dst_sel:DWORD dst_unused:UNUSED_PAD src0_sel:WORD_1 src1_sel:DWORD
	v_fma_f16 v127, v32, s4, v126
	v_add_f16_e32 v124, v127, v124
	v_mul_f16_sdwa v127, v30, s16 dst_sel:DWORD dst_unused:UNUSED_PAD src0_sel:WORD_1 src1_sel:DWORD
	;; [unrolled: 3-line block ×6, first 2 shown]
	v_fma_f16 v132, v42, s6, v131
	v_add_f16_e32 v124, v132, v124
	v_mul_f16_e32 v132, 0xbacd, v47
	v_fma_f16 v133, v25, s27, v132
	v_mul_f16_e32 v134, 0x3722, v51
	v_add_f16_sdwa v133, v4, v133 dst_sel:DWORD dst_unused:UNUSED_PAD src0_sel:WORD_1 src1_sel:DWORD
	v_fma_f16 v135, v26, s21, v134
	v_add_f16_e32 v133, v135, v133
	v_mul_f16_e32 v135, 0x2de8, v56
	v_fma_f16 v136, v28, s22, v135
	v_add_f16_e32 v133, v136, v133
	v_mul_f16_e32 v136, 0xb8d2, v58
	;; [unrolled: 3-line block ×5, first 2 shown]
	v_fma_f16 v140, v37, s24, v139
	v_mul_f16_e32 v47, 0x3b76, v47
	v_add_f16_e32 v133, v140, v133
	v_mul_f16_e32 v140, 0xb461, v66
	v_add_f16_e32 v47, v48, v47
	v_mul_f16_e32 v48, 0x39e9, v51
	v_fma_f16 v141, v40, s25, v140
	v_add_f16_e32 v48, v50, v48
	v_mul_f16_e32 v50, 0x3b76, v27
	v_add_f16_sdwa v47, v4, v47 dst_sel:DWORD dst_unused:UNUSED_PAD src0_sel:WORD_1 src1_sel:DWORD
	v_pk_add_f16 v12, v18, v12
	v_add_f16_e32 v133, v141, v133
	v_mul_f16_sdwa v141, v25, s16 dst_sel:DWORD dst_unused:UNUSED_PAD src0_sel:WORD_1 src1_sel:DWORD
	v_fma_f16 v82, v25, s23, v82
	v_add_f16_e32 v47, v48, v47
	v_mul_f16_e32 v48, 0x39e9, v29
	v_mul_f16_e32 v51, 0x3722, v56
	v_sub_f16_e32 v41, v50, v41
	v_pk_add_f16 v12, v12, v13
	v_fma_f16 v142, v27, s17, v141
	v_mul_f16_sdwa v143, v26, s0 dst_sel:DWORD dst_unused:UNUSED_PAD src0_sel:WORD_1 src1_sel:DWORD
	v_fma_f16 v96, v25, s10, v96
	v_add_f16_sdwa v82, v4, v82 dst_sel:DWORD dst_unused:UNUSED_PAD src0_sel:WORD_1 src1_sel:DWORD
	v_fma_f16 v19, v26, s18, v19
	v_add_f16_e32 v51, v54, v51
	v_mul_f16_e32 v54, 0x3722, v32
	v_sub_f16_e32 v43, v48, v43
	v_add_f16_e32 v41, v4, v41
	v_pk_add_f16 v12, v12, v14
	v_add_f16_e32 v142, v4, v142
	v_fma_f16 v144, v29, s6, v143
	v_add_f16_sdwa v96, v4, v96 dst_sel:DWORD dst_unused:UNUSED_PAD src0_sel:WORD_1 src1_sel:DWORD
	v_fma_f16 v98, v26, s27, v98
	v_add_f16_e32 v19, v19, v82
	v_fma_f16 v82, v28, s25, v83
	v_fma_f16 v75, v25, s21, v75
	v_add_f16_e32 v47, v51, v47
	v_mul_f16_e32 v51, 0x2de8, v34
	v_mul_f16_e32 v56, 0x2de8, v58
	v_add_f16_e32 v41, v43, v41
	v_sub_f16_e32 v44, v54, v44
	v_pk_add_f16 v12, v12, v15
	v_add_f16_e32 v142, v144, v142
	v_mul_f16_sdwa v144, v28, s23 dst_sel:DWORD dst_unused:UNUSED_PAD src0_sel:WORD_1 src1_sel:DWORD
	v_fma_f16 v132, v25, s16, v132
	v_add_f16_e32 v96, v98, v96
	v_fma_f16 v98, v28, s28, v99
	v_add_f16_e32 v19, v82, v19
	v_fma_f16 v82, v30, s1, v84
	v_add_f16_sdwa v75, v4, v75 dst_sel:DWORD dst_unused:UNUSED_PAD src0_sel:WORD_1 src1_sel:DWORD
	v_fma_f16 v76, v26, s14, v76
	v_add_f16_e32 v56, v57, v56
	v_mul_f16_e32 v57, 0xb461, v35
	v_mul_f16_e32 v58, 0xb461, v60
	v_add_f16_e32 v41, v44, v41
	v_sub_f16_e32 v45, v51, v45
	v_pk_add_f16 v10, v12, v10
	v_fma_f16 v145, v32, s7, v144
	v_add_f16_sdwa v132, v4, v132 dst_sel:DWORD dst_unused:UNUSED_PAD src0_sel:WORD_1 src1_sel:DWORD
	v_fma_f16 v134, v26, s0, v134
	v_add_f16_e32 v96, v98, v96
	v_fma_f16 v98, v30, s21, v100
	v_add_f16_e32 v19, v82, v19
	;; [unrolled: 2-line block ×4, first 2 shown]
	v_mul_f16_e32 v56, 0xb8d2, v38
	v_mul_f16_e32 v60, 0xb8d2, v62
	v_add_f16_e32 v58, v59, v58
	v_add_f16_e32 v41, v45, v41
	v_sub_f16_e32 v46, v57, v46
	v_pk_add_f16 v10, v10, v11
	v_add_f16_e32 v142, v145, v142
	v_mul_f16_sdwa v145, v30, s26 dst_sel:DWORD dst_unused:UNUSED_PAD src0_sel:WORD_1 src1_sel:DWORD
	v_add_f16_e32 v132, v134, v132
	v_fma_f16 v134, v28, s23, v135
	v_fma_f16 v114, v25, s14, v114
	v_add_f16_e32 v96, v98, v96
	v_fma_f16 v98, v33, s18, v101
	v_add_f16_e32 v19, v82, v19
	;; [unrolled: 2-line block ×3, first 2 shown]
	v_fma_f16 v76, v30, s25, v78
	v_mul_f16_e32 v59, 0xbacd, v39
	v_mul_f16_e32 v62, 0xbacd, v64
	v_add_f16_e32 v47, v58, v47
	v_add_f16_e32 v60, v61, v60
	;; [unrolled: 1-line block ×3, first 2 shown]
	v_sub_f16_e32 v49, v56, v49
	v_pk_add_f16 v8, v10, v8
	v_fma_f16 v146, v34, s15, v145
	v_add_f16_e32 v132, v134, v132
	v_fma_f16 v134, v30, s26, v136
	v_add_f16_sdwa v114, v4, v114 dst_sel:DWORD dst_unused:UNUSED_PAD src0_sel:WORD_1 src1_sel:DWORD
	v_fma_f16 v116, v26, s25, v116
	v_add_f16_e32 v96, v98, v96
	v_fma_f16 v98, v36, s22, v102
	v_add_f16_e32 v19, v82, v19
	v_mul_f16_e32 v82, 0xb8d2, v64
	v_add_f16_e32 v75, v76, v75
	v_fma_f16 v76, v33, s28, v79
	v_mul_f16_e32 v58, 0xbbdd, v42
	v_mul_f16_e32 v64, 0xbbdd, v66
	v_add_f16_e32 v47, v60, v47
	v_add_f16_e32 v62, v63, v62
	;; [unrolled: 1-line block ×3, first 2 shown]
	v_sub_f16_e32 v55, v59, v55
	v_pk_add_f16 v8, v8, v9
	v_add_f16_e32 v142, v146, v142
	v_mul_f16_sdwa v146, v33, s20 dst_sel:DWORD dst_unused:UNUSED_PAD src0_sel:WORD_1 src1_sel:DWORD
	v_add_f16_e32 v132, v134, v132
	v_fma_f16 v134, v33, s20, v137
	v_add_f16_e32 v114, v116, v114
	v_fma_f16 v116, v28, s20, v117
	;; [unrolled: 2-line block ×4, first 2 shown]
	s_mov_b32 s20, 0x39e93722
	v_add_f16_e32 v47, v62, v47
	v_add_f16_e32 v64, v65, v64
	;; [unrolled: 1-line block ×3, first 2 shown]
	v_sub_f16_e32 v52, v58, v52
	v_pk_add_f16 v6, v8, v6
	v_add_f16_e32 v114, v116, v114
	v_fma_f16 v116, v30, s16, v118
	v_pk_mul_f16 v61, v27, s20
	s_mov_b32 s20, 0xbb29b964
	s_mov_b32 s21, 0x2de8b8d2
	v_add_f16_e32 v47, v64, v47
	v_add_f16_e32 v41, v52, v41
	v_pk_add_f16 v6, v6, v7
	v_add_f16_e32 v114, v116, v114
	v_fma_f16 v116, v33, s22, v119
	v_fma_f16 v83, v37, s26, v82
	v_add_f16_e32 v75, v76, v75
	v_fma_f16 v76, v37, s23, v81
	v_pk_fma_f16 v60, v25, s20, v61 op_sel:[0,0,1] op_sel_hi:[1,1,0] neg_lo:[1,0,0] neg_hi:[1,0,0]
	v_pk_mul_f16 v63, v29, s21
	s_mov_b32 s21, 0xba62bbf7
	s_mov_b32 s23, 0xb8d2bbdd
	v_pk_fma_f16 v61, v25, s20, v61 op_sel:[0,0,1] op_sel_hi:[1,1,0]
	v_lshl_add_u32 v52, v0, 6, v20
	v_pk_add_f16 v6, v6, v31
	v_pack_b32_f16 v7, v41, v47
	s_mov_b32 s20, 0xffff
	v_add_f16_e32 v132, v134, v132
	v_fma_f16 v134, v36, s18, v138
	v_add_f16_e32 v114, v116, v114
	v_fma_f16 v116, v36, s24, v120
	v_add_f16_e32 v19, v83, v19
	v_mul_f16_e32 v83, 0x39e9, v66
	v_pk_fma_f16 v62, v26, s21, v63 op_sel:[0,0,1] op_sel_hi:[1,1,0] neg_lo:[1,0,0] neg_hi:[1,0,0]
	v_pk_mul_f16 v65, v32, s23
	s_mov_b32 s23, 0x31e1ba62
	s_mov_b32 s24, 0xbbddb461
	v_pk_fma_f16 v63, v26, s21, v63 op_sel:[0,0,1] op_sel_hi:[1,1,0]
	ds_write2_b32 v52, v6, v7 offset1:1
	v_bfi_b32 v6, s20, v61, v60
	v_add_f16_e32 v132, v134, v132
	v_fma_f16 v134, v37, s28, v139
	v_add_f16_e32 v114, v116, v114
	v_fma_f16 v116, v37, s18, v121
	;; [unrolled: 2-line block ×3, first 2 shown]
	v_fma_f16 v84, v40, s28, v83
	v_fma_f16 v67, v27, s5, -v67
	v_pk_fma_f16 v64, v28, s23, v65 op_sel:[0,0,1] op_sel_hi:[1,1,0] neg_lo:[1,0,0] neg_hi:[1,0,0]
	v_pk_mul_f16 v50, v34, s24
	s_mov_b32 s24, 0x3bb2b1e1
	s_mov_b32 s25, 0xbacd39e9
	v_pk_fma_f16 v65, v28, s23, v65 op_sel:[0,0,1] op_sel_hi:[1,1,0]
	v_pk_add_f16 v6, v4, v6 op_sel:[1,0] op_sel_hi:[0,1]
	v_bfi_b32 v7, s20, v63, v62
	v_add_f16_e32 v132, v134, v132
	v_fma_f16 v134, v40, s10, v140
	v_add_f16_e32 v114, v116, v114
	v_fma_f16 v116, v40, s0, v122
	v_add_f16_e32 v96, v98, v96
	v_fma_f16 v98, v27, s11, -v105
	v_add_f16_e32 v19, v84, v19
	v_fma_f16 v84, v27, s7, -v87
	;; [unrolled: 2-line block ×3, first 2 shown]
	v_pk_fma_f16 v48, v30, s24, v50 op_sel:[0,0,1] op_sel_hi:[1,1,0] neg_lo:[1,0,0] neg_hi:[1,0,0]
	v_pk_mul_f16 v43, v35, s25
	s_mov_b32 s25, 0x39643836
	s_mov_b32 s26, 0xb4613b76
	v_pk_fma_f16 v50, v30, s24, v50 op_sel:[0,0,1] op_sel_hi:[1,1,0]
	v_pk_add_f16 v6, v7, v6
	v_bfi_b32 v7, s20, v65, v64
	v_add_f16_e32 v132, v134, v132
	v_fma_f16 v134, v27, s17, -v141
	v_add_f16_e32 v114, v116, v114
	v_fma_f16 v116, v27, s15, -v123
	;; [unrolled: 2-line block ×5, first 2 shown]
	v_pk_fma_f16 v54, v33, s25, v43 op_sel:[0,0,1] op_sel_hi:[1,1,0] neg_lo:[1,0,0] neg_hi:[1,0,0]
	v_pk_mul_f16 v44, v38, s26
	s_mov_b32 s26, 0xb5c83bb2
	s_mov_b32 s27, 0x37222de8
	v_pk_fma_f16 v43, v33, s25, v43 op_sel:[0,0,1] op_sel_hi:[1,1,0]
	v_pk_add_f16 v6, v7, v6
	v_bfi_b32 v7, s20, v50, v48
	v_fma_f16 v147, v35, s4, v146
	v_add_f16_e32 v134, v4, v134
	v_fma_f16 v135, v29, s6, -v143
	v_add_f16_e32 v116, v4, v116
	v_fma_f16 v117, v29, s11, -v125
	;; [unrolled: 2-line block ×5, first 2 shown]
	v_pk_fma_f16 v51, v36, s26, v44 op_sel:[0,0,1] op_sel_hi:[1,1,0] neg_lo:[1,0,0] neg_hi:[1,0,0]
	v_pk_mul_f16 v45, v39, s27
	s_mov_b32 s27, 0xbbf73b29
	v_pk_fma_f16 v44, v36, s26, v44 op_sel:[0,0,1] op_sel_hi:[1,1,0]
	v_pk_add_f16 v6, v7, v6
	v_bfi_b32 v7, s20, v43, v54
	v_add_f16_e32 v142, v147, v142
	v_mul_f16_sdwa v147, v36, s18 dst_sel:DWORD dst_unused:UNUSED_PAD src0_sel:WORD_1 src1_sel:DWORD
	v_add_f16_e32 v134, v135, v134
	v_fma_f16 v135, v32, s7, -v144
	v_add_f16_e32 v116, v117, v116
	v_fma_f16 v117, v32, s4, -v126
	v_add_f16_e32 v98, v99, v98
	v_fma_f16 v99, v34, s6, -v109
	v_add_f16_e32 v84, v85, v84
	v_fma_f16 v85, v34, s4, -v91
	v_add_f16_e32 v67, v68, v67
	v_fma_f16 v68, v35, s17, -v71
	v_pk_fma_f16 v57, v37, s27, v45 op_sel:[0,0,1] op_sel_hi:[1,1,0] neg_lo:[1,0,0] neg_hi:[1,0,0]
	s_mov_b32 s29, 0x3b76bacd
	v_pk_fma_f16 v45, v37, s27, v45 op_sel:[0,0,1] op_sel_hi:[1,1,0]
	v_pk_add_f16 v6, v7, v6
	v_bfi_b32 v7, s20, v44, v51
	v_fma_f16 v148, v38, s19, v147
	v_add_f16_e32 v134, v135, v134
	v_fma_f16 v135, v34, s15, -v145
	v_add_f16_e32 v116, v117, v116
	v_fma_f16 v117, v34, s17, -v127
	;; [unrolled: 2-line block ×5, first 2 shown]
	v_pk_mul_f16 v46, v42, s29
	s_mov_b32 s29, 0xb83635c8
	v_pk_add_f16 v6, v7, v6
	v_bfi_b32 v7, s20, v45, v57
	v_add_f16_e32 v142, v148, v142
	v_mul_f16_sdwa v148, v37, s28 dst_sel:DWORD dst_unused:UNUSED_PAD src0_sel:WORD_1 src1_sel:DWORD
	v_add_f16_e32 v134, v135, v134
	v_fma_f16 v135, v35, s4, -v146
	v_add_f16_e32 v116, v117, v116
	v_fma_f16 v117, v35, s7, -v128
	;; [unrolled: 2-line block ×5, first 2 shown]
	v_pk_fma_f16 v49, v40, s29, v46 op_sel:[0,0,1] op_sel_hi:[1,1,0] neg_lo:[1,0,0] neg_hi:[1,0,0]
	v_pk_add_f16 v6, v7, v6
	v_pk_fma_f16 v7, v40, s29, v46 op_sel:[0,0,1] op_sel_hi:[1,1,0]
	v_fma_f16 v149, v39, s5, v148
	v_add_f16_e32 v134, v135, v134
	v_fma_f16 v135, v38, s19, -v147
	v_add_f16_e32 v116, v117, v116
	v_fma_f16 v117, v38, s5, -v129
	;; [unrolled: 2-line block ×4, first 2 shown]
	v_add_f16_e32 v75, v76, v75
	v_fma_f16 v17, v40, s16, v17
	v_add_f16_e32 v67, v68, v67
	v_fma_f16 v68, v42, s4, -v74
	v_bfi_b32 v7, s20, v7, v49
	v_add_f16_e32 v142, v149, v142
	v_mul_f16_sdwa v149, v40, s10 dst_sel:DWORD dst_unused:UNUSED_PAD src0_sel:WORD_1 src1_sel:DWORD
	v_add_f16_e32 v134, v135, v134
	v_fma_f16 v135, v39, s5, -v148
	v_add_f16_e32 v116, v117, v116
	v_fma_f16 v117, v39, s19, -v130
	;; [unrolled: 2-line block ×4, first 2 shown]
	v_add_f16_e32 v17, v17, v75
	v_add_f16_e32 v67, v68, v67
	v_pk_add_f16 v6, v7, v6
	v_add_f16_e32 v134, v135, v134
	v_fma_f16 v135, v42, s11, -v149
	v_add_f16_e32 v116, v117, v116
	v_fma_f16 v117, v42, s6, -v131
	v_add_f16_e32 v98, v99, v98
	v_add_f16_e32 v84, v85, v84
	v_alignbit_b32 v7, v17, v6, 16
	v_pack_b32_f16 v6, v67, v6
	v_add_f16_e32 v134, v135, v134
	v_add_f16_e32 v116, v117, v116
	ds_write2_b32 v52, v6, v7 offset0:2 offset1:3
	v_pack_b32_f16 v6, v98, v96
	v_pack_b32_f16 v7, v84, v19
	ds_write2_b32 v52, v7, v6 offset0:4 offset1:5
	v_pack_b32_f16 v6, v134, v132
	v_pack_b32_f16 v7, v116, v114
	ds_write2_b32 v52, v7, v6 offset0:6 offset1:7
	v_pk_mul_f16 v6, v27, s19 op_sel_hi:[1,0]
	v_pk_fma_f16 v7, v25, s18, v6 op_sel:[0,0,1] op_sel_hi:[1,0,0] neg_lo:[1,0,0] neg_hi:[1,0,0]
	v_pk_mul_f16 v8, v29, s4 op_sel_hi:[1,0]
	v_pk_add_f16 v7, v4, v7 op_sel:[1,0] op_sel_hi:[0,1]
	v_pk_fma_f16 v9, v26, s1, v8 op_sel:[0,0,1] op_sel_hi:[1,0,0] neg_lo:[1,0,0] neg_hi:[1,0,0]
	v_pk_add_f16 v7, v9, v7
	v_pk_mul_f16 v9, v32, s17 op_sel_hi:[1,0]
	v_pk_fma_f16 v10, v28, s16, v9 op_sel:[0,0,1] op_sel_hi:[1,0,0] neg_lo:[1,0,0] neg_hi:[1,0,0]
	v_pk_add_f16 v7, v10, v7
	v_pk_mul_f16 v10, v34, s5 op_sel_hi:[1,0]
	;; [unrolled: 3-line block ×3, first 2 shown]
	v_pk_fma_f16 v6, v25, s18, v6 op_sel:[0,0,1] op_sel_hi:[1,0,0]
	v_add_f16_sdwa v59, v4, v60 dst_sel:DWORD dst_unused:UNUSED_PAD src0_sel:WORD_1 src1_sel:DWORD
	v_pk_add_f16 v55, v4, v61 op_sel:[1,0] op_sel_hi:[0,1]
	v_pk_fma_f16 v12, v33, s14, v11 op_sel:[0,0,1] op_sel_hi:[1,0,0] neg_lo:[1,0,0] neg_hi:[1,0,0]
	v_pk_add_f16 v4, v4, v6 op_sel:[1,0] op_sel_hi:[0,1]
	v_pk_fma_f16 v6, v26, s1, v8 op_sel:[0,0,1] op_sel_hi:[1,0,0]
	v_pk_add_f16 v7, v12, v7
	v_pk_mul_f16 v12, v38, s6 op_sel_hi:[1,0]
	v_pk_add_f16 v4, v6, v4
	v_pk_fma_f16 v6, v28, s16, v9 op_sel:[0,0,1] op_sel_hi:[1,0,0]
	v_pk_fma_f16 v13, v36, s0, v12 op_sel:[0,0,1] op_sel_hi:[1,0,0] neg_lo:[1,0,0] neg_hi:[1,0,0]
	v_pk_add_f16 v4, v6, v4
	v_pk_fma_f16 v6, v30, s28, v10 op_sel:[0,0,1] op_sel_hi:[1,0,0]
	v_pk_add_f16 v7, v13, v7
	v_pk_mul_f16 v13, v39, s11 op_sel_hi:[1,0]
	v_pk_add_f16 v4, v6, v4
	v_pk_fma_f16 v6, v33, s14, v11 op_sel:[0,0,1] op_sel_hi:[1,0,0]
	v_pk_fma_f16 v14, v37, s10, v13 op_sel:[0,0,1] op_sel_hi:[1,0,0] neg_lo:[1,0,0] neg_hi:[1,0,0]
	v_pk_add_f16 v4, v6, v4
	;; [unrolled: 7-line block ×3, first 2 shown]
	v_pk_fma_f16 v6, v40, s22, v14 op_sel:[0,0,1] op_sel_hi:[1,0,0]
	v_fma_f16 v150, v42, s11, v149
	v_pk_add_f16 v55, v63, v55
	v_pk_add_f16 v7, v15, v7
	v_pk_add_f16 v4, v6, v4
	v_add_f16_e32 v142, v150, v142
	v_pk_add_f16 v55, v65, v55
	v_alignbit_b32 v6, v7, v4, 16
	v_alignbit_b32 v4, v4, v7, 16
	v_pk_add_f16 v55, v50, v55
	ds_write2_b32 v52, v4, v6 offset0:8 offset1:9
	v_pack_b32_f16 v4, v124, v115
	v_pack_b32_f16 v6, v142, v133
	v_pk_mul_f16 v56, v40, s29
	v_add_f16_e32 v59, v62, v59
	v_pk_add_f16 v55, v43, v55
	v_fma_f16 v66, v37, s14, v82
	ds_write2_b32 v52, v6, v4 offset0:10 offset1:11
	v_pack_b32_f16 v4, v106, v97
	v_add_f16_e32 v59, v64, v59
	v_pk_add_f16 v55, v44, v55
	v_mul_f16_e32 v58, 0x3964, v40
	ds_write_b32 v52, v4 offset:48
	v_pack_b32_f16 v4, v66, v46
	v_bfi_b32 v6, s20, v16, v56
	v_add_f16_e32 v59, v48, v59
	v_pk_add_f16 v4, v4, v6
	v_bfi_b32 v6, s20, v58, v55
	v_add_f16_e32 v59, v54, v59
	v_pk_add_f16 v6, v83, v6 neg_lo:[0,1] neg_hi:[0,1]
	v_pk_add_f16 v7, v45, v55
	v_add_f16_e32 v59, v51, v59
	v_bfi_b32 v6, s20, v6, v7
	v_add_f16_e32 v59, v57, v59
	v_pk_add_f16 v4, v6, v4
	v_add_f16_e32 v59, v49, v59
	v_alignbit_b32 v5, v5, v4, 16
	v_pack_b32_f16 v4, v88, v4
	s_mov_b32 s0, 0x5040100
	ds_write2_b32 v52, v4, v5 offset0:13 offset1:14
	v_pack_b32_f16 v4, v53, v59
	v_perm_b32 v5, v21, v1, s0
	ds_write2_b32 v52, v4, v5 offset0:15 offset1:16
.LBB0_13:
	s_or_b64 exec, exec, s[2:3]
	v_add_u32_e32 v26, 0x132, v0
	s_mov_b32 s0, 0xf0f1
	v_mul_u32_u24_sdwa v4, v26, s0 dst_sel:DWORD dst_unused:UNUSED_PAD src0_sel:WORD_0 src1_sel:DWORD
	v_lshrrev_b32_e32 v18, 20, v4
	v_mul_lo_u16_e32 v4, 17, v18
	v_add_u32_e32 v25, 0x165, v0
	v_sub_u16_e32 v4, v26, v4
	v_lshlrev_b32_e32 v19, 2, v4
	v_mul_u32_u24_sdwa v4, v25, s0 dst_sel:DWORD dst_unused:UNUSED_PAD src0_sel:WORD_0 src1_sel:DWORD
	v_lshrrev_b32_e32 v30, 20, v4
	v_mul_lo_u16_e32 v4, 17, v30
	v_sub_u16_e32 v4, v25, v4
	v_add_u32_e32 v28, 0xff, v0
	v_lshlrev_b32_e32 v38, 2, v4
	v_mul_u32_u24_sdwa v4, v28, s0 dst_sel:DWORD dst_unused:UNUSED_PAD src0_sel:WORD_0 src1_sel:DWORD
	v_lshrrev_b32_e32 v41, 20, v4
	s_movk_i32 s0, 0xf1
	v_add_u16_e32 v27, 0xcc, v0
	v_mul_lo_u16_e32 v4, 17, v41
	v_mul_lo_u16_sdwa v35, v27, s0 dst_sel:DWORD dst_unused:UNUSED_PAD src0_sel:BYTE_0 src1_sel:DWORD
	v_sub_u16_e32 v4, v28, v4
	v_lshrrev_b16_e32 v44, 12, v35
	v_add_u16_e32 v31, 0x99, v0
	s_waitcnt lgkmcnt(0)
	; wave barrier
	s_waitcnt lgkmcnt(0)
	global_load_dword v39, v19, s[8:9]
	global_load_dword v40, v38, s[8:9]
	v_lshlrev_b32_e32 v42, 2, v4
	v_mul_lo_u16_e32 v4, 17, v44
	v_mul_lo_u16_sdwa v33, v31, s0 dst_sel:DWORD dst_unused:UNUSED_PAD src0_sel:BYTE_0 src1_sel:DWORD
	v_sub_u16_e32 v4, v27, v4
	v_mov_b32_e32 v29, 2
	v_add_u16_e32 v32, 0x66, v0
	v_lshrrev_b16_e32 v47, 12, v33
	v_lshlrev_b32_sdwa v45, v29, v4 dst_sel:DWORD dst_unused:UNUSED_PAD src0_sel:DWORD src1_sel:BYTE_0
	v_mul_lo_u16_e32 v4, 17, v47
	v_mul_lo_u16_sdwa v36, v32, s0 dst_sel:DWORD dst_unused:UNUSED_PAD src0_sel:BYTE_0 src1_sel:DWORD
	v_add_u16_e32 v34, 51, v0
	v_sub_u16_e32 v4, v31, v4
	v_lshrrev_b16_e32 v50, 12, v36
	v_lshlrev_b32_sdwa v48, v29, v4 dst_sel:DWORD dst_unused:UNUSED_PAD src0_sel:DWORD src1_sel:BYTE_0
	v_mul_lo_u16_e32 v4, 17, v50
	v_mul_lo_u16_sdwa v37, v34, s0 dst_sel:DWORD dst_unused:UNUSED_PAD src0_sel:BYTE_0 src1_sel:DWORD
	v_sub_u16_e32 v4, v32, v4
	v_lshrrev_b16_e32 v53, 12, v37
	v_lshlrev_b32_sdwa v51, v29, v4 dst_sel:DWORD dst_unused:UNUSED_PAD src0_sel:DWORD src1_sel:BYTE_0
	v_mul_lo_u16_e32 v4, 17, v53
	v_sub_u16_e32 v4, v34, v4
	global_load_dword v43, v42, s[8:9]
	global_load_dword v46, v45, s[8:9]
	;; [unrolled: 1-line block ×4, first 2 shown]
	v_lshlrev_b32_sdwa v54, v29, v4 dst_sel:DWORD dst_unused:UNUSED_PAD src0_sel:DWORD src1_sel:BYTE_0
	global_load_dword v55, v54, s[8:9]
	v_mul_lo_u16_sdwa v4, v0, s0 dst_sel:DWORD dst_unused:UNUSED_PAD src0_sel:BYTE_0 src1_sel:DWORD
	v_lshrrev_b16_e32 v56, 12, v4
	v_mul_lo_u16_e32 v4, 17, v56
	v_sub_u16_e32 v4, v0, v4
	v_lshlrev_b32_sdwa v57, v29, v4 dst_sel:DWORD dst_unused:UNUSED_PAD src0_sel:DWORD src1_sel:BYTE_0
	global_load_dword v58, v57, s[8:9]
	ds_read2_b32 v[4:5], v20 offset1:51
	ds_read2_b32 v[6:7], v23 offset0:152 offset1:203
	ds_read2_b32 v[8:9], v20 offset0:102 offset1:153
	;; [unrolled: 1-line block ×6, first 2 shown]
	v_mul_u32_u24_e32 v18, 0x88, v18
	v_mul_u32_u24_e32 v24, 0x88, v56
	v_add3_u32 v19, 0, v18, v19
	s_mov_b32 s0, 0xffff
	v_add3_u32 v56, 0, v24, v57
	v_mul_u32_u24_e32 v30, 0x88, v30
	v_add3_u32 v30, 0, v30, v38
	v_mul_u32_u24_e32 v53, 0x88, v53
	v_mul_u32_u24_e32 v50, 0x88, v50
	;; [unrolled: 1-line block ×5, first 2 shown]
	v_add3_u32 v53, 0, v53, v54
	v_add3_u32 v50, 0, v50, v51
	;; [unrolled: 1-line block ×5, first 2 shown]
	s_waitcnt vmcnt(7) lgkmcnt(0)
	v_pk_mul_f16 v38, v16, v39 op_sel:[0,1]
	s_waitcnt vmcnt(6)
	v_pk_mul_f16 v18, v17, v40 op_sel:[0,1]
	v_pk_fma_f16 v24, v17, v40, v18 op_sel:[0,0,1] op_sel_hi:[1,1,0] neg_lo:[0,0,1] neg_hi:[0,0,1]
	v_pk_fma_f16 v17, v17, v40, v18 op_sel:[0,0,1] op_sel_hi:[1,0,0]
	v_bfi_b32 v17, s0, v24, v17
	v_pk_add_f16 v24, v15, v17 neg_lo:[0,1] neg_hi:[0,1]
	ds_read2_b32 v[17:18], v22 offset0:100 offset1:151
	v_pk_fma_f16 v40, v16, v39, v38 op_sel:[0,0,1] op_sel_hi:[1,1,0] neg_lo:[0,0,1] neg_hi:[0,0,1]
	v_pk_fma_f16 v16, v16, v39, v38 op_sel:[0,0,1] op_sel_hi:[1,0,0]
	v_bfi_b32 v16, s0, v40, v16
	v_pk_add_f16 v16, v14, v16 neg_lo:[0,1] neg_hi:[0,1]
	v_pk_fma_f16 v15, v15, 2.0, v24 op_sel_hi:[1,0,1] neg_lo:[0,0,1] neg_hi:[0,0,1]
	v_pk_fma_f16 v14, v14, 2.0, v16 op_sel_hi:[1,0,1] neg_lo:[0,0,1] neg_hi:[0,0,1]
	s_waitcnt lgkmcnt(0)
	; wave barrier
	s_waitcnt vmcnt(5) lgkmcnt(0)
	v_pk_mul_f16 v38, v18, v43 op_sel:[0,1]
	v_pk_fma_f16 v39, v18, v43, v38 op_sel:[0,0,1] op_sel_hi:[1,1,0] neg_lo:[0,0,1] neg_hi:[0,0,1]
	v_pk_fma_f16 v18, v18, v43, v38 op_sel:[0,0,1] op_sel_hi:[1,0,0]
	s_waitcnt vmcnt(4)
	v_pk_mul_f16 v38, v17, v46 op_sel:[0,1]
	v_bfi_b32 v18, s0, v39, v18
	v_pk_fma_f16 v39, v17, v46, v38 op_sel:[0,0,1] op_sel_hi:[1,1,0] neg_lo:[0,0,1] neg_hi:[0,0,1]
	v_pk_fma_f16 v17, v17, v46, v38 op_sel:[0,0,1] op_sel_hi:[1,0,0]
	s_waitcnt vmcnt(3)
	v_pk_mul_f16 v38, v49, v11 op_sel:[0,1]
	v_bfi_b32 v17, s0, v39, v17
	v_pk_fma_f16 v39, v49, v11, v38 op_sel:[0,0,1] op_sel_hi:[1,1,0] neg_lo:[0,0,1] neg_hi:[0,0,1]
	v_pk_fma_f16 v11, v49, v11, v38 op_sel:[0,0,1] op_sel_hi:[1,0,0]
	s_waitcnt vmcnt(2)
	v_pk_mul_f16 v38, v52, v10 op_sel:[0,1]
	v_bfi_b32 v11, s0, v39, v11
	v_pk_fma_f16 v39, v52, v10, v38 op_sel:[0,0,1] op_sel_hi:[1,1,0] neg_lo:[0,0,1] neg_hi:[0,0,1]
	v_pk_fma_f16 v10, v52, v10, v38 op_sel:[0,0,1] op_sel_hi:[1,0,0]
	s_waitcnt vmcnt(1)
	v_pk_mul_f16 v38, v55, v7 op_sel:[0,1]
	v_bfi_b32 v10, s0, v39, v10
	v_pk_fma_f16 v39, v55, v7, v38 op_sel:[0,0,1] op_sel_hi:[1,1,0] neg_lo:[0,0,1] neg_hi:[0,0,1]
	v_pk_fma_f16 v7, v55, v7, v38 op_sel:[0,0,1] op_sel_hi:[1,0,0]
	s_waitcnt vmcnt(0)
	v_pk_mul_f16 v38, v58, v6 op_sel:[0,1]
	v_bfi_b32 v7, s0, v39, v7
	v_pk_fma_f16 v39, v58, v6, v38 op_sel:[0,0,1] op_sel_hi:[1,1,0] neg_lo:[0,0,1] neg_hi:[0,0,1]
	v_pk_fma_f16 v6, v58, v6, v38 op_sel:[0,0,1] op_sel_hi:[1,0,0]
	v_bfi_b32 v6, s0, v39, v6
	v_pk_add_f16 v6, v4, v6 neg_lo:[0,1] neg_hi:[0,1]
	v_pk_add_f16 v18, v13, v18 neg_lo:[0,1] neg_hi:[0,1]
	;; [unrolled: 1-line block ×6, first 2 shown]
	v_pk_fma_f16 v4, v4, 2.0, v6 op_sel_hi:[1,0,1] neg_lo:[0,0,1] neg_hi:[0,0,1]
	v_pk_fma_f16 v13, v13, 2.0, v18 op_sel_hi:[1,0,1] neg_lo:[0,0,1] neg_hi:[0,0,1]
	;; [unrolled: 1-line block ×6, first 2 shown]
	ds_write2_b32 v56, v4, v6 offset1:17
	ds_write2_b32 v53, v5, v7 offset1:17
	;; [unrolled: 1-line block ×8, first 2 shown]
	v_add_u32_e32 v4, 0x200, v20
	s_waitcnt lgkmcnt(0)
	; wave barrier
	s_waitcnt lgkmcnt(0)
	ds_read2_b32 v[10:11], v20 offset1:51
	ds_read2_b32 v[6:7], v4 offset0:76 offset1:144
	ds_read2_b32 v[14:15], v22 offset0:32 offset1:83
	;; [unrolled: 1-line block ×6, first 2 shown]
	ds_read_b32 v38, v20 offset:2992
	v_cmp_gt_u32_e64 s[0:1], 17, v0
	v_lshrrev_b32_e32 v22, 16, v24
                                        ; implicit-def: $vgpr30
                                        ; implicit-def: $vgpr23
	s_and_saveexec_b64 s[2:3], s[0:1]
	s_cbranch_execz .LBB0_15
; %bb.14:
	ds_read_b32 v24, v20 offset:1020
	ds_read_b32 v1, v20 offset:2108
	;; [unrolled: 1-line block ×3, first 2 shown]
	s_waitcnt lgkmcnt(2)
	v_lshrrev_b32_e32 v22, 16, v24
	s_waitcnt lgkmcnt(1)
	v_lshrrev_b32_e32 v21, 16, v1
	s_waitcnt lgkmcnt(0)
	v_lshrrev_b32_e32 v30, 16, v23
.LBB0_15:
	s_or_b64 exec, exec, s[2:3]
	v_subrev_u32_e32 v4, 34, v0
	v_cmp_gt_u32_e64 s[2:3], 34, v0
	v_cndmask_b32_e64 v43, v4, v0, s[2:3]
	v_lshlrev_b32_e32 v4, 1, v43
	v_mov_b32_e32 v5, 0
	v_lshlrev_b64 v[39:40], 2, v[4:5]
	v_lshrrev_b16_e32 v45, 13, v35
	v_mul_lo_u16_e32 v35, 34, v45
	v_mov_b32_e32 v4, s9
	v_mov_b32_e32 v44, 3
	v_sub_u16_e32 v46, v27, v35
	v_add_co_u32_e64 v39, s[2:3], s8, v39
	v_lshlrev_b32_sdwa v35, v44, v46 dst_sel:DWORD dst_unused:UNUSED_PAD src0_sel:DWORD src1_sel:BYTE_0
	v_addc_co_u32_e64 v40, s[2:3], v4, v40, s[2:3]
	v_lshrrev_b16_e32 v4, 13, v37
	global_load_dwordx2 v[41:42], v35, s[8:9] offset:68
	v_mul_lo_u16_e32 v35, 34, v4
	v_lshrrev_b16_e32 v48, 13, v36
	v_sub_u16_e32 v47, v34, v35
	global_load_dwordx2 v[34:35], v[39:40], off offset:68
	v_mul_lo_u16_e32 v39, 34, v48
	v_lshrrev_b16_e32 v50, 13, v33
	v_sub_u16_e32 v49, v32, v39
	v_mul_lo_u16_e32 v39, 34, v50
	v_sub_u16_e32 v31, v31, v39
	v_lshlrev_b32_sdwa v37, v44, v47 dst_sel:DWORD dst_unused:UNUSED_PAD src0_sel:DWORD src1_sel:BYTE_0
	v_lshlrev_b32_sdwa v39, v44, v31 dst_sel:DWORD dst_unused:UNUSED_PAD src0_sel:DWORD src1_sel:BYTE_0
	global_load_dwordx2 v[36:37], v37, s[8:9] offset:68
	v_lshlrev_b32_sdwa v32, v44, v49 dst_sel:DWORD dst_unused:UNUSED_PAD src0_sel:DWORD src1_sel:BYTE_0
	global_load_dwordx2 v[39:40], v39, s[8:9] offset:68
	s_waitcnt lgkmcnt(1)
	v_lshrrev_b32_e32 v56, 16, v19
	global_load_dwordx2 v[32:33], v32, s[8:9] offset:68
	s_waitcnt lgkmcnt(0)
	v_lshrrev_b32_e32 v57, 16, v38
	v_lshrrev_b32_e32 v58, 16, v7
	;; [unrolled: 1-line block ×7, first 2 shown]
	s_movk_i32 s4, 0x3aee
	s_mov_b32 s5, 0xbaee
	v_lshrrev_b32_e32 v62, 16, v17
	v_lshrrev_b32_e32 v63, 16, v12
	;; [unrolled: 1-line block ×7, first 2 shown]
	v_cmp_lt_u32_e64 s[2:3], 33, v0
	s_waitcnt lgkmcnt(0)
	; wave barrier
	v_mul_u32_u24_e32 v4, 0x198, v4
	s_waitcnt vmcnt(4)
	v_mul_f16_sdwa v65, v56, v41 dst_sel:DWORD dst_unused:UNUSED_PAD src0_sel:DWORD src1_sel:WORD_1
	v_mul_f16_sdwa v66, v19, v41 dst_sel:DWORD dst_unused:UNUSED_PAD src0_sel:DWORD src1_sel:WORD_1
	;; [unrolled: 1-line block ×4, first 2 shown]
	v_fma_f16 v19, v19, v41, -v65
	v_fma_f16 v41, v56, v41, v66
	s_waitcnt vmcnt(3)
	v_mul_f16_sdwa v56, v34, v58 dst_sel:DWORD dst_unused:UNUSED_PAD src0_sel:WORD_1 src1_sel:DWORD
	v_mul_f16_sdwa v65, v35, v59 dst_sel:DWORD dst_unused:UNUSED_PAD src0_sel:WORD_1 src1_sel:DWORD
	v_fma_f16 v38, v38, v42, -v67
	v_fma_f16 v42, v57, v42, v68
	v_mul_f16_sdwa v57, v34, v7 dst_sel:DWORD dst_unused:UNUSED_PAD src0_sel:WORD_1 src1_sel:DWORD
	v_mul_f16_sdwa v66, v35, v14 dst_sel:DWORD dst_unused:UNUSED_PAD src0_sel:WORD_1 src1_sel:DWORD
	v_fma_f16 v7, v34, v7, -v56
	v_fma_f16 v14, v35, v14, -v65
	s_waitcnt vmcnt(1)
	v_mul_f16_sdwa v77, v54, v40 dst_sel:DWORD dst_unused:UNUSED_PAD src0_sel:DWORD src1_sel:WORD_1
	v_mul_f16_sdwa v78, v13, v40 dst_sel:DWORD dst_unused:UNUSED_PAD src0_sel:DWORD src1_sel:WORD_1
	v_fma_f16 v34, v34, v58, v57
	v_fma_f16 v35, v35, v59, v66
	v_add_f16_e32 v56, v7, v14
	v_mul_f16_sdwa v67, v36, v60 dst_sel:DWORD dst_unused:UNUSED_PAD src0_sel:WORD_1 src1_sel:DWORD
	v_mul_f16_sdwa v69, v37, v61 dst_sel:DWORD dst_unused:UNUSED_PAD src0_sel:WORD_1 src1_sel:DWORD
	v_fma_f16 v13, v13, v40, -v77
	v_fma_f16 v40, v54, v40, v78
	v_add_f16_e32 v54, v10, v7
	v_fma_f16 v10, v56, -0.5, v10
	v_sub_f16_e32 v56, v34, v35
	v_mul_f16_sdwa v68, v36, v16 dst_sel:DWORD dst_unused:UNUSED_PAD src0_sel:WORD_1 src1_sel:DWORD
	v_mul_f16_sdwa v70, v37, v15 dst_sel:DWORD dst_unused:UNUSED_PAD src0_sel:WORD_1 src1_sel:DWORD
	v_fma_f16 v16, v36, v16, -v67
	v_fma_f16 v15, v37, v15, -v69
	v_fma_f16 v57, v56, s4, v10
	v_fma_f16 v10, v56, s5, v10
	v_add_f16_e32 v56, v44, v34
	v_add_f16_e32 v34, v34, v35
	v_fma_f16 v36, v36, v60, v68
	v_fma_f16 v37, v37, v61, v70
	v_add_f16_e32 v56, v56, v35
	v_fma_f16 v34, v34, -0.5, v44
	v_sub_f16_e32 v7, v7, v14
	v_add_f16_e32 v35, v16, v15
	s_waitcnt vmcnt(0)
	v_mul_f16_sdwa v71, v32, v62 dst_sel:DWORD dst_unused:UNUSED_PAD src0_sel:WORD_1 src1_sel:DWORD
	v_mul_f16_sdwa v73, v33, v63 dst_sel:DWORD dst_unused:UNUSED_PAD src0_sel:WORD_1 src1_sel:DWORD
	v_add_f16_e32 v54, v54, v14
	v_fma_f16 v14, v7, s5, v34
	v_fma_f16 v7, v7, s4, v34
	v_add_f16_e32 v34, v11, v16
	v_fma_f16 v11, v35, -0.5, v11
	v_sub_f16_e32 v35, v36, v37
	v_mul_f16_sdwa v72, v32, v17 dst_sel:DWORD dst_unused:UNUSED_PAD src0_sel:WORD_1 src1_sel:DWORD
	v_mul_f16_sdwa v74, v33, v12 dst_sel:DWORD dst_unused:UNUSED_PAD src0_sel:WORD_1 src1_sel:DWORD
	v_fma_f16 v17, v32, v17, -v71
	v_fma_f16 v12, v33, v12, -v73
	v_fma_f16 v44, v35, s4, v11
	v_fma_f16 v11, v35, s5, v11
	v_add_f16_e32 v35, v51, v36
	v_add_f16_e32 v36, v36, v37
	v_fma_f16 v32, v32, v62, v72
	v_fma_f16 v33, v33, v63, v74
	v_add_f16_e32 v34, v34, v15
	v_add_f16_e32 v35, v35, v37
	v_fma_f16 v36, v36, -0.5, v51
	v_sub_f16_e32 v15, v16, v15
	v_add_f16_e32 v37, v17, v12
	v_mul_f16_sdwa v75, v39, v64 dst_sel:DWORD dst_unused:UNUSED_PAD src0_sel:WORD_1 src1_sel:DWORD
	v_fma_f16 v16, v15, s5, v36
	v_fma_f16 v15, v15, s4, v36
	v_add_f16_e32 v36, v8, v17
	v_fma_f16 v8, v37, -0.5, v8
	v_sub_f16_e32 v37, v32, v33
	v_mul_f16_sdwa v76, v39, v18 dst_sel:DWORD dst_unused:UNUSED_PAD src0_sel:WORD_1 src1_sel:DWORD
	v_fma_f16 v18, v39, v18, -v75
	v_fma_f16 v51, v37, s4, v8
	v_fma_f16 v8, v37, s5, v8
	v_add_f16_e32 v37, v52, v32
	v_add_f16_e32 v32, v32, v33
	v_fma_f16 v39, v39, v64, v76
	v_add_f16_e32 v36, v36, v12
	v_add_f16_e32 v37, v37, v33
	v_fma_f16 v32, v32, -0.5, v52
	v_sub_f16_e32 v12, v17, v12
	v_add_f16_e32 v33, v18, v13
	v_fma_f16 v17, v12, s5, v32
	v_fma_f16 v12, v12, s4, v32
	v_add_f16_e32 v32, v9, v18
	v_fma_f16 v9, v33, -0.5, v9
	v_sub_f16_e32 v33, v39, v40
	v_fma_f16 v52, v33, s4, v9
	v_fma_f16 v9, v33, s5, v9
	v_add_f16_e32 v33, v53, v39
	v_add_f16_e32 v39, v39, v40
	;; [unrolled: 1-line block ×4, first 2 shown]
	v_fma_f16 v39, v39, -0.5, v53
	v_sub_f16_e32 v13, v18, v13
	v_add_f16_e32 v40, v19, v38
	v_fma_f16 v18, v13, s5, v39
	v_fma_f16 v13, v13, s4, v39
	v_add_f16_e32 v39, v6, v19
	v_fma_f16 v6, v40, -0.5, v6
	v_sub_f16_e32 v40, v41, v42
	v_fma_f16 v53, v40, s4, v6
	v_fma_f16 v6, v40, s5, v6
	v_add_f16_e32 v40, v55, v41
	v_add_f16_e32 v41, v41, v42
	v_fma_f16 v41, v41, -0.5, v55
	v_sub_f16_e32 v19, v19, v38
	v_add_f16_e32 v39, v39, v38
	v_fma_f16 v38, v19, s5, v41
	v_fma_f16 v19, v19, s4, v41
	v_mov_b32_e32 v41, 0x198
	v_add_f16_e32 v40, v40, v42
	v_cndmask_b32_e64 v41, 0, v41, s[2:3]
	v_lshlrev_b32_e32 v42, 2, v43
	v_add3_u32 v41, 0, v41, v42
	v_pack_b32_f16 v7, v10, v7
	ds_write_b32 v41, v7 offset:272
	v_lshlrev_b32_sdwa v7, v29, v47 dst_sel:DWORD dst_unused:UNUSED_PAD src0_sel:DWORD src1_sel:BYTE_0
	v_pack_b32_f16 v42, v54, v56
	v_pack_b32_f16 v14, v57, v14
	v_add3_u32 v4, 0, v4, v7
	v_pack_b32_f16 v7, v34, v35
	v_pack_b32_f16 v10, v44, v16
	ds_write2_b32 v41, v42, v14 offset1:34
	ds_write2_b32 v4, v7, v10 offset1:34
	v_pack_b32_f16 v7, v11, v15
	ds_write_b32 v4, v7 offset:272
	v_mul_u32_u24_e32 v4, 0x198, v48
	v_lshlrev_b32_sdwa v7, v29, v49 dst_sel:DWORD dst_unused:UNUSED_PAD src0_sel:DWORD src1_sel:BYTE_0
	v_add3_u32 v4, 0, v4, v7
	v_pack_b32_f16 v7, v36, v37
	v_pack_b32_f16 v10, v51, v17
	ds_write2_b32 v4, v7, v10 offset1:34
	v_pack_b32_f16 v7, v8, v12
	ds_write_b32 v4, v7 offset:272
	v_mul_u32_u24_e32 v4, 0x198, v50
	v_lshlrev_b32_sdwa v7, v29, v31 dst_sel:DWORD dst_unused:UNUSED_PAD src0_sel:DWORD src1_sel:BYTE_0
	v_add3_u32 v4, 0, v4, v7
	v_pack_b32_f16 v7, v32, v33
	v_pack_b32_f16 v8, v52, v18
	;; [unrolled: 8-line block ×3, first 2 shown]
	v_pack_b32_f16 v6, v6, v19
	ds_write2_b32 v4, v7, v8 offset1:34
	ds_write_b32 v4, v6 offset:272
	s_and_saveexec_b64 s[2:3], s[0:1]
	s_cbranch_execz .LBB0_17
; %bb.16:
	s_mov_b32 s0, 0xf0f1
	v_mul_u32_u24_sdwa v4, v28, s0 dst_sel:DWORD dst_unused:UNUSED_PAD src0_sel:WORD_0 src1_sel:DWORD
	v_lshrrev_b32_e32 v4, 21, v4
	v_mul_lo_u16_e32 v4, 34, v4
	v_sub_u16_e32 v4, v28, v4
	v_lshlrev_b32_e32 v6, 3, v4
	global_load_dwordx2 v[6:7], v6, s[8:9] offset:68
	v_lshl_add_u32 v4, v4, 2, 0
	v_add_u32_e32 v8, 0x800, v4
	s_waitcnt vmcnt(0)
	v_mul_f16_sdwa v9, v23, v7 dst_sel:DWORD dst_unused:UNUSED_PAD src0_sel:DWORD src1_sel:WORD_1
	v_mul_f16_sdwa v10, v1, v6 dst_sel:DWORD dst_unused:UNUSED_PAD src0_sel:DWORD src1_sel:WORD_1
	;; [unrolled: 1-line block ×4, first 2 shown]
	v_fma_f16 v9, v30, v7, v9
	v_fma_f16 v10, v21, v6, v10
	v_fma_f16 v1, v1, v6, -v11
	v_fma_f16 v6, v23, v7, -v12
	v_add_f16_e32 v7, v22, v10
	v_add_f16_e32 v11, v24, v1
	v_sub_f16_e32 v12, v1, v6
	v_add_f16_e32 v13, v10, v9
	v_add_f16_e32 v1, v1, v6
	v_sub_f16_e32 v10, v10, v9
	v_add_f16_e32 v7, v7, v9
	v_fma_f16 v9, v13, -0.5, v22
	v_fma_f16 v1, v1, -0.5, v24
	v_add_f16_e32 v6, v11, v6
	v_fma_f16 v11, v12, s4, v9
	v_fma_f16 v9, v12, s5, v9
	;; [unrolled: 1-line block ×4, first 2 shown]
	v_pack_b32_f16 v6, v6, v7
	v_pack_b32_f16 v1, v1, v9
	;; [unrolled: 1-line block ×3, first 2 shown]
	ds_write2_b32 v8, v6, v1 offset0:202 offset1:236
	ds_write_b32 v4, v7 offset:3128
.LBB0_17:
	s_or_b64 exec, exec, s[2:3]
	v_mov_b32_e32 v1, v5
	v_lshlrev_b64 v[4:5], 2, v[0:1]
	v_mov_b32_e32 v1, s9
	v_add_co_u32_e64 v6, s[0:1], s8, v4
	v_addc_co_u32_e64 v7, s[0:1], v1, v5, s[0:1]
	s_mov_b32 s0, 0xa0a1
	v_mul_u32_u24_sdwa v8, v26, s0 dst_sel:DWORD dst_unused:UNUSED_PAD src0_sel:WORD_0 src1_sel:DWORD
	v_lshrrev_b32_e32 v8, 22, v8
	v_mul_lo_u16_e32 v8, 0x66, v8
	v_mul_u32_u24_sdwa v1, v28, s0 dst_sel:DWORD dst_unused:UNUSED_PAD src0_sel:WORD_0 src1_sel:DWORD
	v_sub_u16_e32 v8, v26, v8
	v_lshrrev_b32_e32 v1, 22, v1
	v_lshlrev_b32_e32 v26, 2, v8
	v_mul_u32_u24_sdwa v8, v25, s0 dst_sel:DWORD dst_unused:UNUSED_PAD src0_sel:WORD_0 src1_sel:DWORD
	v_mul_lo_u16_e32 v1, 0x66, v1
	v_lshrrev_b32_e32 v8, 22, v8
	s_movk_i32 s0, 0xa1
	s_waitcnt lgkmcnt(0)
	; wave barrier
	s_waitcnt lgkmcnt(0)
	v_sub_u16_e32 v1, v28, v1
	global_load_dword v28, v[6:7], off offset:340
	v_mul_lo_u16_e32 v8, 0x66, v8
	v_mul_lo_u16_sdwa v9, v27, s0 dst_sel:DWORD dst_unused:UNUSED_PAD src0_sel:BYTE_0 src1_sel:DWORD
	v_lshlrev_b32_e32 v1, 2, v1
	v_sub_u16_e32 v8, v25, v8
	v_lshrrev_b16_e32 v9, 14, v9
	v_lshlrev_b32_e32 v25, 2, v8
	global_load_dword v29, v1, s[8:9] offset:340
	global_load_dword v30, v26, s[8:9] offset:340
	;; [unrolled: 1-line block ×3, first 2 shown]
	global_load_dword v32, v[6:7], off offset:544
	v_mul_lo_u16_e32 v9, 0x66, v9
	v_mov_b32_e32 v8, 2
	v_sub_u16_e32 v9, v27, v9
	v_lshlrev_b32_sdwa v27, v8, v9 dst_sel:DWORD dst_unused:UNUSED_PAD src0_sel:DWORD src1_sel:BYTE_0
	global_load_dword v33, v27, s[8:9] offset:340
	v_add_u32_e32 v34, 0x400, v20
	ds_read2_b32 v[8:9], v20 offset1:51
	ds_read2_b32 v[10:11], v20 offset0:102 offset1:153
	v_add_u32_e32 v35, 0x600, v20
	ds_read2_b32 v[12:13], v20 offset0:204 offset1:255
	v_add_u32_e32 v36, 0x800, v20
	ds_read2_b32 v[14:15], v34 offset0:152 offset1:203
	ds_read2_b32 v[16:17], v35 offset0:126 offset1:177
	;; [unrolled: 1-line block ×5, first 2 shown]
	s_mov_b32 s2, 0xffff
	v_add_u32_e32 v27, 0, v27
	v_add_u32_e32 v1, 0, v1
	;; [unrolled: 1-line block ×3, first 2 shown]
	s_waitcnt lgkmcnt(0)
	; wave barrier
	s_waitcnt lgkmcnt(0)
	v_add_u32_e32 v1, 0x400, v1
	v_add_u32_e32 v25, 0, v25
	v_cmp_ne_u32_e64 s[0:1], 0, v0
	s_waitcnt vmcnt(5)
	v_pk_mul_f16 v37, v28, v14 op_sel:[0,1]
	v_pk_mul_f16 v38, v28, v16 op_sel:[0,1]
	v_pk_fma_f16 v39, v28, v14, v37 op_sel:[0,0,1] op_sel_hi:[1,1,0] neg_lo:[0,0,1] neg_hi:[0,0,1]
	v_pk_fma_f16 v14, v28, v14, v37 op_sel:[0,0,1] op_sel_hi:[1,0,0]
	v_pk_fma_f16 v37, v28, v16, v38 op_sel:[0,0,1] op_sel_hi:[1,1,0] neg_lo:[0,0,1] neg_hi:[0,0,1]
	v_pk_fma_f16 v16, v28, v16, v38 op_sel:[0,0,1] op_sel_hi:[1,0,0]
	v_bfi_b32 v16, s2, v37, v16
	s_waitcnt vmcnt(1)
	v_pk_mul_f16 v28, v32, v15 op_sel:[0,1]
	v_pk_mul_f16 v37, v32, v17 op_sel:[0,1]
	;; [unrolled: 1-line block ×3, first 2 shown]
	v_pk_fma_f16 v41, v32, v15, v28 op_sel:[0,0,1] op_sel_hi:[1,1,0] neg_lo:[0,0,1] neg_hi:[0,0,1]
	v_pk_fma_f16 v15, v32, v15, v28 op_sel:[0,0,1] op_sel_hi:[1,0,0]
	v_pk_fma_f16 v28, v32, v17, v37 op_sel:[0,0,1] op_sel_hi:[1,1,0] neg_lo:[0,0,1] neg_hi:[0,0,1]
	v_pk_fma_f16 v17, v32, v17, v37 op_sel:[0,0,1] op_sel_hi:[1,0,0]
	v_bfi_b32 v17, s2, v28, v17
	v_pk_fma_f16 v28, v24, v29, v40 op_sel:[0,0,1] op_sel_hi:[1,1,0] neg_lo:[0,0,1] neg_hi:[0,0,1]
	v_pk_fma_f16 v24, v24, v29, v40 op_sel:[0,0,1] op_sel_hi:[1,0,0]
	v_bfi_b32 v24, s2, v28, v24
	s_waitcnt vmcnt(0)
	v_pk_mul_f16 v28, v23, v33 op_sel:[0,1]
	v_bfi_b32 v14, s2, v39, v14
	v_pk_mul_f16 v38, v22, v31 op_sel:[0,1]
	v_pk_mul_f16 v39, v21, v30 op_sel:[0,1]
	v_bfi_b32 v15, s2, v41, v15
	v_pk_fma_f16 v29, v23, v33, v28 op_sel:[0,0,1] op_sel_hi:[1,1,0] neg_lo:[0,0,1] neg_hi:[0,0,1]
	v_pk_fma_f16 v23, v23, v33, v28 op_sel:[0,0,1] op_sel_hi:[1,0,0]
	v_pk_add_f16 v14, v8, v14 neg_lo:[0,1] neg_hi:[0,1]
	v_pk_fma_f16 v32, v22, v31, v38 op_sel:[0,0,1] op_sel_hi:[1,1,0] neg_lo:[0,0,1] neg_hi:[0,0,1]
	v_pk_fma_f16 v22, v22, v31, v38 op_sel:[0,0,1] op_sel_hi:[1,0,0]
	v_pk_fma_f16 v31, v21, v30, v39 op_sel:[0,0,1] op_sel_hi:[1,1,0] neg_lo:[0,0,1] neg_hi:[0,0,1]
	v_pk_fma_f16 v21, v21, v30, v39 op_sel:[0,0,1] op_sel_hi:[1,0,0]
	v_pk_add_f16 v15, v9, v15 neg_lo:[0,1] neg_hi:[0,1]
	v_bfi_b32 v23, s2, v29, v23
	v_pk_add_f16 v16, v10, v16 neg_lo:[0,1] neg_hi:[0,1]
	v_pk_fma_f16 v8, v8, 2.0, v14 op_sel_hi:[1,0,1] neg_lo:[0,0,1] neg_hi:[0,0,1]
	v_bfi_b32 v21, s2, v31, v21
	v_pk_add_f16 v17, v11, v17 neg_lo:[0,1] neg_hi:[0,1]
	v_pk_fma_f16 v9, v9, 2.0, v15 op_sel_hi:[1,0,1] neg_lo:[0,0,1] neg_hi:[0,0,1]
	v_pk_add_f16 v24, v13, v24 neg_lo:[0,1] neg_hi:[0,1]
	v_pk_add_f16 v23, v12, v23 neg_lo:[0,1] neg_hi:[0,1]
	v_pk_fma_f16 v10, v10, 2.0, v16 op_sel_hi:[1,0,1] neg_lo:[0,0,1] neg_hi:[0,0,1]
	v_bfi_b32 v22, s2, v32, v22
	v_pk_add_f16 v21, v18, v21 neg_lo:[0,1] neg_hi:[0,1]
	v_pk_fma_f16 v11, v11, 2.0, v17 op_sel_hi:[1,0,1] neg_lo:[0,0,1] neg_hi:[0,0,1]
	v_pk_fma_f16 v13, v13, 2.0, v24 op_sel_hi:[1,0,1] neg_lo:[0,0,1] neg_hi:[0,0,1]
	;; [unrolled: 1-line block ×3, first 2 shown]
	ds_write2_b32 v20, v8, v9 offset1:51
	ds_write2_b32 v20, v14, v15 offset0:102 offset1:153
	ds_write2_b32 v20, v10, v11 offset0:204 offset1:255
	;; [unrolled: 1-line block ×3, first 2 shown]
	v_add_u32_e32 v8, 0x400, v27
	v_pk_add_f16 v22, v19, v22 neg_lo:[0,1] neg_hi:[0,1]
	v_pk_fma_f16 v18, v18, 2.0, v21 op_sel_hi:[1,0,1] neg_lo:[0,0,1] neg_hi:[0,0,1]
	ds_write2_b32 v8, v12, v23 offset0:152 offset1:254
	ds_write2_b32 v1, v13, v24 offset0:152 offset1:254
	v_add_u32_e32 v1, 0x800, v26
	v_pk_fma_f16 v19, v19, 2.0, v22 op_sel_hi:[1,0,1] neg_lo:[0,0,1] neg_hi:[0,0,1]
	ds_write2_b32 v1, v18, v21 offset0:100 offset1:202
	v_add_u32_e32 v1, 0x800, v25
	ds_write2_b32 v1, v19, v22 offset0:100 offset1:202
	s_waitcnt lgkmcnt(0)
	; wave barrier
	s_waitcnt lgkmcnt(0)
	global_load_dword v1, v[6:7], off offset:748
	global_load_dword v25, v[6:7], off offset:952
	;; [unrolled: 1-line block ×4, first 2 shown]
	ds_read2_b32 v[8:9], v20 offset1:51
	ds_read2_b32 v[10:11], v34 offset0:152 offset1:203
	ds_read2_b32 v[12:13], v20 offset0:102 offset1:153
	;; [unrolled: 1-line block ×7, first 2 shown]
	s_waitcnt lgkmcnt(0)
	; wave barrier
	s_waitcnt vmcnt(3) lgkmcnt(0)
	v_pk_mul_f16 v28, v1, v10 op_sel:[0,1]
	s_waitcnt vmcnt(2)
	v_pk_mul_f16 v29, v25, v11 op_sel:[0,1]
	s_waitcnt vmcnt(1)
	;; [unrolled: 2-line block ×3, first 2 shown]
	v_pk_mul_f16 v31, v27, v15 op_sel:[0,1]
	v_pk_mul_f16 v32, v21, v1 op_sel:[0,1]
	;; [unrolled: 1-line block ×5, first 2 shown]
	v_pk_fma_f16 v39, v1, v10, v28 op_sel:[0,0,1] op_sel_hi:[1,1,0] neg_lo:[0,0,1] neg_hi:[0,0,1]
	v_pk_fma_f16 v10, v1, v10, v28 op_sel:[0,0,1] op_sel_hi:[1,0,0]
	v_pk_fma_f16 v28, v25, v11, v29 op_sel:[0,0,1] op_sel_hi:[1,1,0] neg_lo:[0,0,1] neg_hi:[0,0,1]
	v_pk_fma_f16 v11, v25, v11, v29 op_sel:[0,0,1] op_sel_hi:[1,0,0]
	;; [unrolled: 2-line block ×8, first 2 shown]
	v_bfi_b32 v10, s2, v39, v10
	v_bfi_b32 v11, s2, v28, v11
	;; [unrolled: 1-line block ×8, first 2 shown]
	v_pk_add_f16 v10, v8, v10 neg_lo:[0,1] neg_hi:[0,1]
	v_pk_add_f16 v11, v9, v11 neg_lo:[0,1] neg_hi:[0,1]
	;; [unrolled: 1-line block ×7, first 2 shown]
	v_pk_fma_f16 v8, v8, 2.0, v10 op_sel_hi:[1,0,1] neg_lo:[0,0,1] neg_hi:[0,0,1]
	v_pk_fma_f16 v9, v9, 2.0, v11 op_sel_hi:[1,0,1] neg_lo:[0,0,1] neg_hi:[0,0,1]
	v_pk_add_f16 v23, v19, v23 neg_lo:[0,1] neg_hi:[0,1]
	v_pk_fma_f16 v12, v12, 2.0, v14 op_sel_hi:[1,0,1] neg_lo:[0,0,1] neg_hi:[0,0,1]
	v_pk_fma_f16 v13, v13, 2.0, v15 op_sel_hi:[1,0,1] neg_lo:[0,0,1] neg_hi:[0,0,1]
	v_pk_fma_f16 v16, v16, 2.0, v1 op_sel_hi:[1,0,1] neg_lo:[0,0,1] neg_hi:[0,0,1]
	v_pk_fma_f16 v17, v17, 2.0, v21 op_sel_hi:[1,0,1] neg_lo:[0,0,1] neg_hi:[0,0,1]
	v_pk_fma_f16 v18, v18, 2.0, v22 op_sel_hi:[1,0,1] neg_lo:[0,0,1] neg_hi:[0,0,1]
	v_pk_fma_f16 v19, v19, 2.0, v23 op_sel_hi:[1,0,1] neg_lo:[0,0,1] neg_hi:[0,0,1]
	ds_write2_b32 v20, v8, v9 offset1:51
	ds_write2_b32 v20, v10, v11 offset0:204 offset1:255
	ds_write2_b32 v20, v12, v13 offset0:102 offset1:153
	;; [unrolled: 1-line block ×7, first 2 shown]
	s_waitcnt lgkmcnt(0)
	; wave barrier
	s_waitcnt lgkmcnt(0)
	global_load_dword v1, v[6:7], off offset:2584
	global_load_dword v25, v[6:7], off offset:2788
	;; [unrolled: 1-line block ×8, first 2 shown]
	ds_read2_b32 v[8:9], v20 offset1:51
	ds_read2_b32 v[10:11], v34 offset0:152 offset1:203
	ds_read2_b32 v[12:13], v20 offset0:102 offset1:153
	;; [unrolled: 1-line block ×7, first 2 shown]
	s_waitcnt lgkmcnt(0)
	; wave barrier
	s_waitcnt vmcnt(7) lgkmcnt(0)
	v_pk_mul_f16 v40, v22, v1 op_sel:[0,1]
	s_waitcnt vmcnt(6)
	v_pk_mul_f16 v41, v23, v25 op_sel:[0,1]
	s_waitcnt vmcnt(5)
	;; [unrolled: 2-line block ×7, first 2 shown]
	v_pk_mul_f16 v39, v21, v31 op_sel:[0,1]
	v_pk_fma_f16 v43, v27, v10, v32 op_sel:[0,0,1] op_sel_hi:[1,1,0] neg_lo:[0,0,1] neg_hi:[0,0,1]
	v_pk_fma_f16 v10, v27, v10, v32 op_sel:[0,0,1] op_sel_hi:[1,0,0]
	v_pk_fma_f16 v27, v28, v11, v33 op_sel:[0,0,1] op_sel_hi:[1,1,0] neg_lo:[0,0,1] neg_hi:[0,0,1]
	v_pk_fma_f16 v11, v28, v11, v33 op_sel:[0,0,1] op_sel_hi:[1,0,0]
	;; [unrolled: 2-line block ×8, first 2 shown]
	v_bfi_b32 v10, s2, v43, v10
	v_bfi_b32 v11, s2, v27, v11
	;; [unrolled: 1-line block ×8, first 2 shown]
	v_pk_add_f16 v10, v8, v10 neg_lo:[0,1] neg_hi:[0,1]
	v_pk_add_f16 v11, v9, v11 neg_lo:[0,1] neg_hi:[0,1]
	;; [unrolled: 1-line block ×8, first 2 shown]
	v_pk_fma_f16 v8, v8, 2.0, v10 op_sel_hi:[1,0,1] neg_lo:[0,0,1] neg_hi:[0,0,1]
	v_pk_fma_f16 v9, v9, 2.0, v11 op_sel_hi:[1,0,1] neg_lo:[0,0,1] neg_hi:[0,0,1]
	;; [unrolled: 1-line block ×8, first 2 shown]
	ds_write2_b32 v34, v10, v11 offset0:152 offset1:203
	ds_write2_b32 v35, v14, v15 offset0:126 offset1:177
	;; [unrolled: 1-line block ×3, first 2 shown]
	ds_write2_b32 v20, v8, v9 offset1:51
	ds_write2_b32 v20, v12, v13 offset0:102 offset1:153
	ds_write2_b32 v20, v16, v17 offset0:204 offset1:255
	;; [unrolled: 1-line block ×4, first 2 shown]
	s_waitcnt lgkmcnt(0)
	; wave barrier
	s_waitcnt lgkmcnt(0)
	ds_read_b32 v11, v20
	v_lshlrev_b32_e32 v1, 2, v0
	v_sub_u32_e32 v1, 0, v1
                                        ; implicit-def: $vgpr10
                                        ; implicit-def: $vgpr8
                                        ; implicit-def: $vgpr9
	s_and_saveexec_b64 s[4:5], s[0:1]
	s_xor_b64 s[0:1], exec, s[4:5]
	s_cbranch_execz .LBB0_19
; %bb.18:
	global_load_dword v6, v[6:7], off offset:3196
	ds_read_b32 v7, v1 offset:3264
	s_waitcnt lgkmcnt(0)
	v_pk_add_f16 v8, v11, v7 neg_lo:[0,1] neg_hi:[0,1]
	v_pk_add_f16 v7, v7, v11
	v_bfi_b32 v9, s2, v8, v7
	v_bfi_b32 v7, s2, v7, v8
	v_pk_mul_f16 v8, v9, 0.5 op_sel_hi:[1,0]
	v_pk_mul_f16 v9, v7, 0.5 op_sel_hi:[1,0]
                                        ; implicit-def: $vgpr11
	s_waitcnt vmcnt(0)
	v_pk_mul_f16 v10, v6, v8 op_sel:[1,0]
	v_pk_mul_f16 v6, v6, v8 op_sel_hi:[0,1]
	v_pk_fma_f16 v7, v7, 0.5, v10 op_sel_hi:[1,0,1]
	v_sub_f16_e32 v8, v9, v10
	v_sub_f16_sdwa v9, v10, v9 dst_sel:DWORD dst_unused:UNUSED_PAD src0_sel:WORD_1 src1_sel:WORD_1
	v_pk_add_f16 v10, v7, v6 op_sel:[0,1] op_sel_hi:[1,0]
	v_pk_add_f16 v7, v7, v6 op_sel:[0,1] op_sel_hi:[1,0] neg_lo:[0,1] neg_hi:[0,1]
	v_sub_f16_sdwa v8, v8, v6 dst_sel:DWORD dst_unused:UNUSED_PAD src0_sel:DWORD src1_sel:WORD_1
	v_bfi_b32 v10, s2, v10, v7
	v_sub_f16_e32 v9, v9, v6
.LBB0_19:
	s_andn2_saveexec_b64 s[0:1], s[0:1]
	s_cbranch_execz .LBB0_21
; %bb.20:
	v_mov_b32_e32 v9, 0
	ds_read_u16 v6, v9 offset:1634
	s_waitcnt lgkmcnt(1)
	v_alignbit_b32 v7, s0, v11, 16
	v_pk_add_f16 v7, v7, v11
	v_sub_f16_sdwa v8, v11, v11 dst_sel:DWORD dst_unused:UNUSED_PAD src0_sel:DWORD src1_sel:WORD_1
	v_pack_b32_f16 v10, v7, 0
	s_waitcnt lgkmcnt(0)
	v_xor_b32_e32 v6, 0x8000, v6
	ds_write_b16 v9, v6 offset:1634
.LBB0_21:
	s_or_b64 exec, exec, s[0:1]
	s_add_u32 s0, s8, 0xc7c
	s_addc_u32 s1, s9, 0
	v_mov_b32_e32 v7, s1
	v_add_co_u32_e64 v6, s[0:1], s0, v4
	v_addc_co_u32_e64 v7, s[0:1], v7, v5, s[0:1]
	s_waitcnt lgkmcnt(0)
	global_load_dword v11, v[6:7], off offset:204
	global_load_dword v12, v[6:7], off offset:408
	;; [unrolled: 1-line block ×3, first 2 shown]
	ds_write_b16 v1, v9 offset:3266
	ds_write_b32 v20, v10
	ds_write_b16 v1, v8 offset:3264
	ds_read_b32 v8, v20 offset:204
	ds_read_b32 v9, v1 offset:3060
	global_load_dword v10, v[6:7], off offset:816
	global_load_dword v14, v[6:7], off offset:1020
	;; [unrolled: 1-line block ×4, first 2 shown]
	s_mov_b32 s0, 0xffff
	s_waitcnt lgkmcnt(0)
	v_pk_add_f16 v6, v8, v9 neg_lo:[0,1] neg_hi:[0,1]
	v_pk_add_f16 v7, v8, v9
	v_bfi_b32 v8, s0, v6, v7
	v_bfi_b32 v6, s0, v7, v6
	v_pk_mul_f16 v7, v8, 0.5 op_sel_hi:[1,0]
	v_pk_mul_f16 v8, v6, 0.5 op_sel_hi:[1,0]
	s_waitcnt vmcnt(6)
	v_pk_mul_f16 v9, v11, v7 op_sel:[1,0]
	v_pk_mul_f16 v7, v11, v7 op_sel_hi:[0,1]
	v_pk_fma_f16 v6, v6, 0.5, v9 op_sel_hi:[1,0,1]
	v_sub_f16_e32 v11, v8, v9
	v_sub_f16_sdwa v8, v9, v8 dst_sel:DWORD dst_unused:UNUSED_PAD src0_sel:WORD_1 src1_sel:WORD_1
	v_pk_add_f16 v9, v6, v7 op_sel:[0,1] op_sel_hi:[1,0]
	v_pk_add_f16 v6, v6, v7 op_sel:[0,1] op_sel_hi:[1,0] neg_lo:[0,1] neg_hi:[0,1]
	v_sub_f16_sdwa v11, v11, v7 dst_sel:DWORD dst_unused:UNUSED_PAD src0_sel:DWORD src1_sel:WORD_1
	v_sub_f16_e32 v7, v8, v7
	v_bfi_b32 v6, s0, v9, v6
	ds_write_b16 v1, v7 offset:3062
	ds_write_b32 v20, v6 offset:204
	ds_write_b16 v1, v11 offset:3060
	ds_read_b32 v6, v20 offset:408
	ds_read_b32 v7, v1 offset:2856
	s_waitcnt lgkmcnt(0)
	v_pk_add_f16 v8, v6, v7 neg_lo:[0,1] neg_hi:[0,1]
	v_pk_add_f16 v6, v6, v7
	v_bfi_b32 v7, s0, v8, v6
	v_bfi_b32 v6, s0, v6, v8
	v_pk_mul_f16 v7, v7, 0.5 op_sel_hi:[1,0]
	v_pk_mul_f16 v8, v6, 0.5 op_sel_hi:[1,0]
	s_waitcnt vmcnt(5)
	v_pk_mul_f16 v9, v12, v7 op_sel:[1,0]
	v_pk_mul_f16 v7, v12, v7 op_sel_hi:[0,1]
	v_pk_fma_f16 v6, v6, 0.5, v9 op_sel_hi:[1,0,1]
	v_sub_f16_e32 v11, v8, v9
	v_sub_f16_sdwa v8, v9, v8 dst_sel:DWORD dst_unused:UNUSED_PAD src0_sel:WORD_1 src1_sel:WORD_1
	v_pk_add_f16 v9, v6, v7 op_sel:[0,1] op_sel_hi:[1,0]
	v_pk_add_f16 v6, v6, v7 op_sel:[0,1] op_sel_hi:[1,0] neg_lo:[0,1] neg_hi:[0,1]
	v_sub_f16_sdwa v11, v11, v7 dst_sel:DWORD dst_unused:UNUSED_PAD src0_sel:DWORD src1_sel:WORD_1
	v_sub_f16_e32 v7, v8, v7
	v_bfi_b32 v6, s0, v9, v6
	ds_write_b16 v1, v7 offset:2858
	ds_write_b32 v20, v6 offset:408
	ds_write_b16 v1, v11 offset:2856
	ds_read_b32 v6, v20 offset:612
	ds_read_b32 v7, v1 offset:2652
	;; [unrolled: 23-line block ×4, first 2 shown]
	s_waitcnt lgkmcnt(0)
	v_pk_add_f16 v8, v6, v7 neg_lo:[0,1] neg_hi:[0,1]
	v_pk_add_f16 v6, v6, v7
	v_bfi_b32 v7, s0, v8, v6
	v_bfi_b32 v6, s0, v6, v8
	v_pk_mul_f16 v7, v7, 0.5 op_sel_hi:[1,0]
	v_pk_mul_f16 v6, v6, 0.5 op_sel_hi:[1,0]
	s_waitcnt vmcnt(2)
	v_pk_fma_f16 v8, v14, v7, v6 op_sel:[1,0,0]
	v_pk_mul_f16 v9, v14, v7 op_sel_hi:[0,1]
	v_pk_fma_f16 v10, v14, v7, v6 op_sel:[1,0,0] neg_lo:[1,0,0] neg_hi:[1,0,0]
	v_pk_fma_f16 v6, v14, v7, v6 op_sel:[1,0,0] neg_lo:[0,0,1] neg_hi:[0,0,1]
	v_pk_add_f16 v7, v8, v9 op_sel:[0,1] op_sel_hi:[1,0]
	v_pk_add_f16 v8, v8, v9 op_sel:[0,1] op_sel_hi:[1,0] neg_lo:[0,1] neg_hi:[0,1]
	v_pk_add_f16 v10, v10, v9 op_sel:[0,1] op_sel_hi:[1,0] neg_lo:[0,1] neg_hi:[0,1]
	;; [unrolled: 1-line block ×3, first 2 shown]
	v_bfi_b32 v7, s0, v7, v8
	v_bfi_b32 v6, s0, v10, v6
	ds_write_b32 v20, v7 offset:1020
	ds_write_b32 v1, v6 offset:2244
	ds_read_b32 v6, v20 offset:1224
	ds_read_b32 v7, v1 offset:2040
	s_waitcnt lgkmcnt(0)
	v_pk_add_f16 v8, v6, v7 neg_lo:[0,1] neg_hi:[0,1]
	v_pk_add_f16 v6, v6, v7
	v_bfi_b32 v7, s0, v8, v6
	v_bfi_b32 v6, s0, v6, v8
	v_pk_mul_f16 v7, v7, 0.5 op_sel_hi:[1,0]
	v_pk_mul_f16 v8, v6, 0.5 op_sel_hi:[1,0]
	s_waitcnt vmcnt(1)
	v_pk_mul_f16 v9, v15, v7 op_sel:[1,0]
	v_pk_mul_f16 v7, v15, v7 op_sel_hi:[0,1]
	v_pk_fma_f16 v6, v6, 0.5, v9 op_sel_hi:[1,0,1]
	v_sub_f16_e32 v10, v8, v9
	v_sub_f16_sdwa v8, v9, v8 dst_sel:DWORD dst_unused:UNUSED_PAD src0_sel:WORD_1 src1_sel:WORD_1
	v_pk_add_f16 v9, v6, v7 op_sel:[0,1] op_sel_hi:[1,0]
	v_pk_add_f16 v6, v6, v7 op_sel:[0,1] op_sel_hi:[1,0] neg_lo:[0,1] neg_hi:[0,1]
	v_sub_f16_sdwa v10, v10, v7 dst_sel:DWORD dst_unused:UNUSED_PAD src0_sel:DWORD src1_sel:WORD_1
	v_sub_f16_e32 v7, v8, v7
	v_bfi_b32 v6, s0, v9, v6
	ds_write_b16 v1, v7 offset:2042
	ds_write_b32 v20, v6 offset:1224
	ds_write_b16 v1, v10 offset:2040
	ds_read_b32 v6, v20 offset:1428
	ds_read_b32 v7, v1 offset:1836
	s_waitcnt lgkmcnt(0)
	v_pk_add_f16 v8, v6, v7 neg_lo:[0,1] neg_hi:[0,1]
	v_pk_add_f16 v6, v6, v7
	v_bfi_b32 v7, s0, v8, v6
	v_bfi_b32 v6, s0, v6, v8
	v_pk_mul_f16 v7, v7, 0.5 op_sel_hi:[1,0]
	v_pk_mul_f16 v6, v6, 0.5 op_sel_hi:[1,0]
	s_waitcnt vmcnt(0)
	v_pk_fma_f16 v8, v16, v7, v6 op_sel:[1,0,0]
	v_pk_mul_f16 v9, v16, v7 op_sel_hi:[0,1]
	v_pk_fma_f16 v10, v16, v7, v6 op_sel:[1,0,0] neg_lo:[1,0,0] neg_hi:[1,0,0]
	v_pk_fma_f16 v6, v16, v7, v6 op_sel:[1,0,0] neg_lo:[0,0,1] neg_hi:[0,0,1]
	v_pk_add_f16 v7, v8, v9 op_sel:[0,1] op_sel_hi:[1,0]
	v_pk_add_f16 v8, v8, v9 op_sel:[0,1] op_sel_hi:[1,0] neg_lo:[0,1] neg_hi:[0,1]
	v_pk_add_f16 v10, v10, v9 op_sel:[0,1] op_sel_hi:[1,0] neg_lo:[0,1] neg_hi:[0,1]
	;; [unrolled: 1-line block ×3, first 2 shown]
	v_bfi_b32 v7, s0, v7, v8
	v_bfi_b32 v6, s0, v10, v6
	ds_write_b32 v20, v7 offset:1428
	ds_write_b32 v1, v6 offset:1836
	s_waitcnt lgkmcnt(0)
	; wave barrier
	s_waitcnt lgkmcnt(0)
	s_and_saveexec_b64 s[0:1], vcc
	s_cbranch_execz .LBB0_24
; %bb.22:
	ds_read2_b32 v[6:7], v20 offset1:51
	v_mov_b32_e32 v8, s13
	v_add_co_u32_e32 v1, vcc, s12, v2
	v_addc_co_u32_e32 v2, vcc, v8, v3, vcc
	ds_read2_b32 v[8:9], v20 offset0:102 offset1:153
	v_add_co_u32_e32 v3, vcc, v1, v4
	v_addc_co_u32_e32 v4, vcc, v2, v5, vcc
	s_waitcnt lgkmcnt(1)
	global_store_dword v[3:4], v6, off
	global_store_dword v[3:4], v7, off offset:204
	s_waitcnt lgkmcnt(0)
	global_store_dword v[3:4], v8, off offset:408
	ds_read2_b32 v[5:6], v20 offset0:204 offset1:255
	v_add_u32_e32 v10, 0x400, v20
	ds_read2_b32 v[7:8], v10 offset0:50 offset1:101
	global_store_dword v[3:4], v9, off offset:612
	ds_read2_b32 v[9:10], v10 offset0:152 offset1:203
	s_waitcnt lgkmcnt(2)
	global_store_dword v[3:4], v5, off offset:816
	global_store_dword v[3:4], v6, off offset:1020
	s_waitcnt lgkmcnt(1)
	global_store_dword v[3:4], v7, off offset:1224
	global_store_dword v[3:4], v8, off offset:1428
	s_waitcnt lgkmcnt(0)
	global_store_dword v[3:4], v9, off offset:1632
	v_add_u32_e32 v5, 0x600, v20
	ds_read2_b32 v[5:6], v5 offset0:126 offset1:177
	v_add_u32_e32 v9, 0x800, v20
	ds_read2_b32 v[7:8], v9 offset0:100 offset1:151
	global_store_dword v[3:4], v10, off offset:1836
	ds_read2_b32 v[9:10], v9 offset0:202 offset1:253
	v_cmp_eq_u32_e32 vcc, 50, v0
	s_waitcnt lgkmcnt(2)
	global_store_dword v[3:4], v5, off offset:2040
	global_store_dword v[3:4], v6, off offset:2244
	s_waitcnt lgkmcnt(1)
	global_store_dword v[3:4], v7, off offset:2448
	global_store_dword v[3:4], v8, off offset:2652
	;; [unrolled: 3-line block ×3, first 2 shown]
	s_and_b64 exec, exec, vcc
	s_cbranch_execz .LBB0_24
; %bb.23:
	v_mov_b32_e32 v0, 0
	ds_read_b32 v0, v0 offset:3264
	s_waitcnt lgkmcnt(0)
	global_store_dword v[1:2], v0, off offset:3264
.LBB0_24:
	s_endpgm
	.section	.rodata,"a",@progbits
	.p2align	6, 0x0
	.amdhsa_kernel fft_rtc_fwd_len816_factors_17_2_3_2_2_2_wgs_51_tpt_51_halfLds_half_ip_CI_unitstride_sbrr_R2C_dirReg
		.amdhsa_group_segment_fixed_size 0
		.amdhsa_private_segment_fixed_size 0
		.amdhsa_kernarg_size 88
		.amdhsa_user_sgpr_count 6
		.amdhsa_user_sgpr_private_segment_buffer 1
		.amdhsa_user_sgpr_dispatch_ptr 0
		.amdhsa_user_sgpr_queue_ptr 0
		.amdhsa_user_sgpr_kernarg_segment_ptr 1
		.amdhsa_user_sgpr_dispatch_id 0
		.amdhsa_user_sgpr_flat_scratch_init 0
		.amdhsa_user_sgpr_private_segment_size 0
		.amdhsa_uses_dynamic_stack 0
		.amdhsa_system_sgpr_private_segment_wavefront_offset 0
		.amdhsa_system_sgpr_workgroup_id_x 1
		.amdhsa_system_sgpr_workgroup_id_y 0
		.amdhsa_system_sgpr_workgroup_id_z 0
		.amdhsa_system_sgpr_workgroup_info 0
		.amdhsa_system_vgpr_workitem_id 0
		.amdhsa_next_free_vgpr 151
		.amdhsa_next_free_sgpr 30
		.amdhsa_reserve_vcc 1
		.amdhsa_reserve_flat_scratch 0
		.amdhsa_float_round_mode_32 0
		.amdhsa_float_round_mode_16_64 0
		.amdhsa_float_denorm_mode_32 3
		.amdhsa_float_denorm_mode_16_64 3
		.amdhsa_dx10_clamp 1
		.amdhsa_ieee_mode 1
		.amdhsa_fp16_overflow 0
		.amdhsa_exception_fp_ieee_invalid_op 0
		.amdhsa_exception_fp_denorm_src 0
		.amdhsa_exception_fp_ieee_div_zero 0
		.amdhsa_exception_fp_ieee_overflow 0
		.amdhsa_exception_fp_ieee_underflow 0
		.amdhsa_exception_fp_ieee_inexact 0
		.amdhsa_exception_int_div_zero 0
	.end_amdhsa_kernel
	.text
.Lfunc_end0:
	.size	fft_rtc_fwd_len816_factors_17_2_3_2_2_2_wgs_51_tpt_51_halfLds_half_ip_CI_unitstride_sbrr_R2C_dirReg, .Lfunc_end0-fft_rtc_fwd_len816_factors_17_2_3_2_2_2_wgs_51_tpt_51_halfLds_half_ip_CI_unitstride_sbrr_R2C_dirReg
                                        ; -- End function
	.section	.AMDGPU.csdata,"",@progbits
; Kernel info:
; codeLenInByte = 13028
; NumSgprs: 34
; NumVgprs: 151
; ScratchSize: 0
; MemoryBound: 0
; FloatMode: 240
; IeeeMode: 1
; LDSByteSize: 0 bytes/workgroup (compile time only)
; SGPRBlocks: 4
; VGPRBlocks: 37
; NumSGPRsForWavesPerEU: 34
; NumVGPRsForWavesPerEU: 151
; Occupancy: 1
; WaveLimiterHint : 1
; COMPUTE_PGM_RSRC2:SCRATCH_EN: 0
; COMPUTE_PGM_RSRC2:USER_SGPR: 6
; COMPUTE_PGM_RSRC2:TRAP_HANDLER: 0
; COMPUTE_PGM_RSRC2:TGID_X_EN: 1
; COMPUTE_PGM_RSRC2:TGID_Y_EN: 0
; COMPUTE_PGM_RSRC2:TGID_Z_EN: 0
; COMPUTE_PGM_RSRC2:TIDIG_COMP_CNT: 0
	.type	__hip_cuid_78bbed83c3dd551a,@object ; @__hip_cuid_78bbed83c3dd551a
	.section	.bss,"aw",@nobits
	.globl	__hip_cuid_78bbed83c3dd551a
__hip_cuid_78bbed83c3dd551a:
	.byte	0                               ; 0x0
	.size	__hip_cuid_78bbed83c3dd551a, 1

	.ident	"AMD clang version 19.0.0git (https://github.com/RadeonOpenCompute/llvm-project roc-6.4.0 25133 c7fe45cf4b819c5991fe208aaa96edf142730f1d)"
	.section	".note.GNU-stack","",@progbits
	.addrsig
	.addrsig_sym __hip_cuid_78bbed83c3dd551a
	.amdgpu_metadata
---
amdhsa.kernels:
  - .args:
      - .actual_access:  read_only
        .address_space:  global
        .offset:         0
        .size:           8
        .value_kind:     global_buffer
      - .offset:         8
        .size:           8
        .value_kind:     by_value
      - .actual_access:  read_only
        .address_space:  global
        .offset:         16
        .size:           8
        .value_kind:     global_buffer
      - .actual_access:  read_only
        .address_space:  global
        .offset:         24
        .size:           8
        .value_kind:     global_buffer
      - .offset:         32
        .size:           8
        .value_kind:     by_value
      - .actual_access:  read_only
        .address_space:  global
        .offset:         40
        .size:           8
        .value_kind:     global_buffer
      - .actual_access:  read_only
        .address_space:  global
        .offset:         48
        .size:           8
        .value_kind:     global_buffer
      - .offset:         56
        .size:           4
        .value_kind:     by_value
      - .actual_access:  read_only
        .address_space:  global
        .offset:         64
        .size:           8
        .value_kind:     global_buffer
      - .actual_access:  read_only
        .address_space:  global
        .offset:         72
        .size:           8
        .value_kind:     global_buffer
      - .address_space:  global
        .offset:         80
        .size:           8
        .value_kind:     global_buffer
    .group_segment_fixed_size: 0
    .kernarg_segment_align: 8
    .kernarg_segment_size: 88
    .language:       OpenCL C
    .language_version:
      - 2
      - 0
    .max_flat_workgroup_size: 51
    .name:           fft_rtc_fwd_len816_factors_17_2_3_2_2_2_wgs_51_tpt_51_halfLds_half_ip_CI_unitstride_sbrr_R2C_dirReg
    .private_segment_fixed_size: 0
    .sgpr_count:     34
    .sgpr_spill_count: 0
    .symbol:         fft_rtc_fwd_len816_factors_17_2_3_2_2_2_wgs_51_tpt_51_halfLds_half_ip_CI_unitstride_sbrr_R2C_dirReg.kd
    .uniform_work_group_size: 1
    .uses_dynamic_stack: false
    .vgpr_count:     151
    .vgpr_spill_count: 0
    .wavefront_size: 64
amdhsa.target:   amdgcn-amd-amdhsa--gfx906
amdhsa.version:
  - 1
  - 2
...

	.end_amdgpu_metadata
